;; amdgpu-corpus repo=ROCm/rocFFT kind=compiled arch=gfx1201 opt=O3
	.text
	.amdgcn_target "amdgcn-amd-amdhsa--gfx1201"
	.amdhsa_code_object_version 6
	.protected	bluestein_single_fwd_len51_dim1_sp_op_CI_CI ; -- Begin function bluestein_single_fwd_len51_dim1_sp_op_CI_CI
	.globl	bluestein_single_fwd_len51_dim1_sp_op_CI_CI
	.p2align	8
	.type	bluestein_single_fwd_len51_dim1_sp_op_CI_CI,@function
bluestein_single_fwd_len51_dim1_sp_op_CI_CI: ; @bluestein_single_fwd_len51_dim1_sp_op_CI_CI
; %bb.0:
	s_load_b128 s[4:7], s[0:1], 0x28
	v_mul_u32_u24_e32 v1, 0xf10, v0
	s_mov_b32 s2, exec_lo
	s_delay_alu instid0(VALU_DEP_1) | instskip(NEXT) | instid1(VALU_DEP_1)
	v_lshrrev_b32_e32 v1, 16, v1
	v_mad_co_u64_u32 v[60:61], null, ttmp9, 15, v[1:2]
	v_mov_b32_e32 v61, 0
	s_wait_kmcnt 0x0
	s_delay_alu instid0(VALU_DEP_1)
	v_cmpx_gt_u64_e64 s[4:5], v[60:61]
	s_cbranch_execz .LBB0_15
; %bb.1:
	v_mul_hi_u32 v2, 0x88888889, v60
	v_mul_lo_u16 v1, v1, 17
	s_clause 0x1
	s_load_b64 s[4:5], s[0:1], 0x0
	s_load_b64 s[12:13], s[0:1], 0x38
	s_delay_alu instid0(VALU_DEP_1) | instskip(NEXT) | instid1(VALU_DEP_3)
	v_sub_nc_u16 v0, v0, v1
	v_lshrrev_b32_e32 v2, 3, v2
	s_delay_alu instid0(VALU_DEP_2) | instskip(SKIP_1) | instid1(VALU_DEP_3)
	v_and_b32_e32 v69, 0xffff, v0
	v_cmp_gt_u16_e32 vcc_lo, 3, v0
	v_mul_lo_u32 v2, v2, 15
	s_delay_alu instid0(VALU_DEP_3)
	v_lshlrev_b32_e32 v64, 3, v69
	v_or_b32_e32 v67, 12, v69
	v_or_b32_e32 v66, 24, v69
	;; [unrolled: 1-line block ×4, first 2 shown]
	v_sub_nc_u32_e32 v1, v60, v2
	s_delay_alu instid0(VALU_DEP_1) | instskip(NEXT) | instid1(VALU_DEP_1)
	v_mul_u32_u24_e32 v68, 51, v1
	v_lshlrev_b32_e32 v70, 3, v68
	s_and_saveexec_b32 s3, vcc_lo
	s_cbranch_execz .LBB0_3
; %bb.2:
	s_load_b64 s[8:9], s[0:1], 0x18
	s_delay_alu instid0(VALU_DEP_1)
	v_lshl_add_u32 v83, v69, 3, v70
	v_add_nc_u32_e32 v84, v70, v64
	s_wait_kmcnt 0x0
	s_load_b128 s[8:11], s[8:9], 0x0
	s_clause 0x5
	global_load_b64 v[0:1], v64, s[4:5]
	global_load_b64 v[2:3], v64, s[4:5] offset:24
	global_load_b64 v[4:5], v64, s[4:5] offset:96
	;; [unrolled: 1-line block ×5, first 2 shown]
	s_wait_kmcnt 0x0
	v_mad_co_u64_u32 v[8:9], null, s10, v60, 0
	v_mad_co_u64_u32 v[10:11], null, s8, v69, 0
	;; [unrolled: 1-line block ×5, first 2 shown]
	s_delay_alu instid0(VALU_DEP_4) | instskip(NEXT) | instid1(VALU_DEP_4)
	v_mad_co_u64_u32 v[24:25], null, s11, v60, v[9:10]
	v_mad_co_u64_u32 v[25:26], null, s9, v69, v[11:12]
	;; [unrolled: 1-line block ×4, first 2 shown]
	s_delay_alu instid0(VALU_DEP_4) | instskip(SKIP_3) | instid1(VALU_DEP_4)
	v_mov_b32_e32 v9, v24
	v_mad_co_u64_u32 v[27:28], null, s9, v66, v[15:16]
	v_mov_b32_e32 v11, v25
	v_mad_co_u64_u32 v[28:29], null, s9, v65, v[17:18]
	v_lshlrev_b64_e32 v[8:9], 3, v[8:9]
	v_mov_b32_e32 v13, v26
	s_delay_alu instid0(VALU_DEP_4) | instskip(SKIP_2) | instid1(VALU_DEP_4)
	v_lshlrev_b64_e32 v[10:11], 3, v[10:11]
	v_mov_b32_e32 v15, v27
	s_mul_u64 s[10:11], s[8:9], 24
	v_add_co_u32 v24, s2, s6, v8
	v_lshlrev_b64_e32 v[12:13], 3, v[12:13]
	v_add_co_ci_u32_e64 v25, s2, s7, v9, s2
	v_mov_b32_e32 v17, v28
	v_lshlrev_b64_e32 v[14:15], 3, v[14:15]
	v_add_co_u32 v10, s2, v24, v10
	s_wait_alu 0xf1ff
	v_add_co_ci_u32_e64 v11, s2, v25, v11, s2
	v_lshlrev_b64_e32 v[16:17], 3, v[16:17]
	v_add_co_u32 v12, s2, v24, v12
	s_wait_alu 0xf1ff
	v_add_co_ci_u32_e64 v13, s2, v25, v13, s2
	v_add_co_u32 v14, s2, v24, v14
	s_wait_alu 0xf1ff
	v_add_co_ci_u32_e64 v15, s2, v25, v15, s2
	;; [unrolled: 3-line block ×3, first 2 shown]
	s_wait_loadcnt 0x1
	v_mad_co_u64_u32 v[29:30], null, s9, v63, v[19:20]
	s_mul_u64 s[8:9], s[8:9], 48
	s_delay_alu instid0(VALU_DEP_1) | instskip(NEXT) | instid1(VALU_DEP_1)
	v_mov_b32_e32 v19, v29
	v_lshlrev_b64_e32 v[8:9], 3, v[18:19]
	s_clause 0x3
	global_load_b64 v[18:19], v[10:11], off
	global_load_b64 v[12:13], v[12:13], off
	;; [unrolled: 1-line block ×4, first 2 shown]
	v_add_co_u32 v8, s2, v24, v8
	s_wait_alu 0xf1ff
	v_add_co_ci_u32_e64 v9, s2, v25, v9, s2
	s_wait_alu 0xfffe
	v_add_co_u32 v10, s2, v10, s10
	s_wait_alu 0xf1ff
	v_add_co_ci_u32_e64 v11, s2, s11, v11, s2
	global_load_b64 v[8:9], v[8:9], off
	v_add_co_u32 v24, s2, v10, s10
	s_wait_alu 0xf1ff
	v_add_co_ci_u32_e64 v25, s2, s11, v11, s2
	s_delay_alu instid0(VALU_DEP_2) | instskip(SKIP_1) | instid1(VALU_DEP_2)
	v_add_co_u32 v26, s2, v24, s10
	s_wait_alu 0xf1ff
	v_add_co_ci_u32_e64 v27, s2, s11, v25, s2
	s_clause 0x1
	global_load_b64 v[24:25], v[24:25], off
	global_load_b64 v[10:11], v[10:11], off
	v_add_co_u32 v28, s2, v26, s8
	s_wait_alu 0xf1ff
	v_add_co_ci_u32_e64 v29, s2, s9, v27, s2
	s_delay_alu instid0(VALU_DEP_2) | instskip(SKIP_1) | instid1(VALU_DEP_2)
	v_add_co_u32 v30, s2, v28, s10
	s_wait_alu 0xf1ff
	v_add_co_ci_u32_e64 v31, s2, s11, v29, s2
	s_delay_alu instid0(VALU_DEP_2) | instskip(SKIP_1) | instid1(VALU_DEP_2)
	v_add_co_u32 v32, s2, v30, s10
	s_wait_alu 0xf1ff
	v_add_co_ci_u32_e64 v33, s2, s11, v31, s2
	s_clause 0x1
	global_load_b64 v[34:35], v64, s[4:5] offset:48
	global_load_b64 v[36:37], v64, s[4:5] offset:72
	s_clause 0x1
	global_load_b64 v[26:27], v[26:27], off
	global_load_b64 v[28:29], v[28:29], off
	;; [unrolled: 1-line block ×4, first 2 shown]
	v_add_co_u32 v32, s2, v32, s8
	s_wait_alu 0xf1ff
	v_add_co_ci_u32_e64 v33, s2, s9, v33, s2
	s_clause 0x2
	global_load_b64 v[40:41], v64, s[4:5] offset:120
	global_load_b64 v[42:43], v64, s[4:5] offset:144
	;; [unrolled: 1-line block ×3, first 2 shown]
	v_add_co_u32 v46, s2, v32, s10
	s_wait_alu 0xf1ff
	v_add_co_ci_u32_e64 v47, s2, s11, v33, s2
	global_load_b64 v[32:33], v[32:33], off
	v_add_co_u32 v48, s2, v46, s10
	s_wait_alu 0xf1ff
	v_add_co_ci_u32_e64 v49, s2, s11, v47, s2
	global_load_b64 v[50:51], v64, s[4:5] offset:216
	v_add_co_u32 v52, s2, v48, s8
	s_wait_alu 0xf1ff
	v_add_co_ci_u32_e64 v53, s2, s9, v49, s2
	global_load_b64 v[46:47], v[46:47], off
	global_load_b64 v[48:49], v[48:49], off
	s_clause 0x1
	global_load_b64 v[54:55], v64, s[4:5] offset:240
	global_load_b64 v[56:57], v64, s[4:5] offset:264
	global_load_b64 v[58:59], v[52:53], off
	global_load_b64 v[61:62], v64, s[4:5] offset:312
	v_add_co_u32 v52, s2, v52, s10
	s_wait_alu 0xf1ff
	v_add_co_ci_u32_e64 v53, s2, s11, v53, s2
	s_delay_alu instid0(VALU_DEP_2) | instskip(SKIP_1) | instid1(VALU_DEP_2)
	v_add_co_u32 v71, s2, v52, s10
	s_wait_alu 0xf1ff
	v_add_co_ci_u32_e64 v72, s2, s11, v53, s2
	global_load_b64 v[52:53], v[52:53], off
	s_clause 0x1
	global_load_b64 v[73:74], v64, s[4:5] offset:336
	global_load_b64 v[75:76], v64, s[4:5] offset:360
	global_load_b64 v[71:72], v[71:72], off
	s_wait_loadcnt 0x1a
	v_mul_f32_e32 v80, v12, v5
	v_mul_f32_e32 v77, v19, v1
	;; [unrolled: 1-line block ×3, first 2 shown]
	s_wait_loadcnt 0x18
	v_mul_f32_e32 v81, v17, v21
	v_fma_f32 v80, v13, v4, -v80
	v_fmac_f32_e32 v77, v18, v0
	v_fma_f32 v78, v19, v0, -v78
	s_wait_loadcnt 0x17
	v_mul_f32_e32 v1, v9, v23
	v_mul_f32_e32 v23, v8, v23
	s_wait_loadcnt 0x15
	v_mul_f32_e32 v18, v11, v3
	v_mul_f32_e32 v0, v10, v3
	s_delay_alu instid0(VALU_DEP_2) | instskip(NEXT) | instid1(VALU_DEP_2)
	v_fmac_f32_e32 v18, v10, v2
	v_fma_f32 v19, v11, v2, -v0
	s_wait_loadcnt 0x12
	v_mul_f32_e32 v2, v27, v37
	v_mul_f32_e32 v79, v13, v5
	v_dual_mul_f32 v5, v15, v7 :: v_dual_mul_f32 v0, v26, v37
	v_mul_f32_e32 v7, v14, v7
	s_delay_alu instid0(VALU_DEP_4) | instskip(NEXT) | instid1(VALU_DEP_4)
	v_fmac_f32_e32 v2, v26, v36
	v_fmac_f32_e32 v79, v12, v4
	s_delay_alu instid0(VALU_DEP_4)
	v_dual_mul_f32 v4, v24, v35 :: v_dual_fmac_f32 v5, v14, v6
	s_wait_loadcnt 0xd
	v_mul_f32_e32 v10, v31, v43
	v_mul_f32_e32 v11, v30, v43
	;; [unrolled: 1-line block ×3, first 2 shown]
	v_fma_f32 v4, v25, v34, -v4
	s_delay_alu instid0(VALU_DEP_4) | instskip(NEXT) | instid1(VALU_DEP_3)
	v_dual_fmac_f32 v81, v16, v20 :: v_dual_fmac_f32 v10, v30, v42
	v_fma_f32 v82, v17, v20, -v21
	s_wait_loadcnt 0xa
	v_mul_f32_e32 v12, v33, v51
	v_mul_f32_e32 v3, v25, v35
	ds_store_b64 v83, v[77:78]
	v_fmac_f32_e32 v12, v32, v50
	s_wait_loadcnt 0x4
	v_mul_f32_e32 v14, v59, v62
	s_delay_alu instid0(VALU_DEP_1)
	v_dual_fmac_f32 v3, v24, v34 :: v_dual_fmac_f32 v14, v58, v61
	ds_store_2addr_b64 v84, v[18:19], v[3:4] offset0:3 offset1:6
	v_mul_f32_e32 v4, v28, v41
	v_fma_f32 v3, v27, v36, -v0
	v_mul_f32_e32 v0, v38, v45
	v_fma_f32 v6, v15, v6, -v7
	s_wait_loadcnt 0x0
	v_dual_mul_f32 v7, v29, v41 :: v_dual_mul_f32 v18, v72, v76
	v_fmac_f32_e32 v1, v8, v22
	v_fma_f32 v8, v29, v40, -v4
	v_fma_f32 v4, v39, v44, -v0
	v_mul_f32_e32 v0, v46, v55
	v_fmac_f32_e32 v18, v71, v75
	ds_store_2addr_b64 v84, v[2:3], v[79:80] offset0:9 offset1:12
	v_mul_f32_e32 v2, v32, v51
	v_fmac_f32_e32 v7, v28, v40
	v_dual_mul_f32 v3, v39, v45 :: v_dual_mul_f32 v16, v53, v74
	v_mul_f32_e32 v19, v71, v76
	s_delay_alu instid0(VALU_DEP_4)
	v_fma_f32 v13, v33, v50, -v2
	v_mul_f32_e32 v2, v48, v57
	v_fma_f32 v11, v31, v42, -v11
	v_dual_fmac_f32 v3, v38, v44 :: v_dual_fmac_f32 v16, v52, v73
	v_fma_f32 v19, v72, v75, -v19
	ds_store_2addr_b64 v84, v[7:8], v[10:11] offset0:15 offset1:18
	v_dual_mul_f32 v7, v47, v55 :: v_dual_mul_f32 v10, v49, v57
	v_fma_f32 v8, v47, v54, -v0
	v_fma_f32 v11, v49, v56, -v2
	v_mul_f32_e32 v0, v58, v62
	v_mul_f32_e32 v2, v52, v74
	v_dual_fmac_f32 v7, v46, v54 :: v_dual_fmac_f32 v10, v48, v56
	s_delay_alu instid0(VALU_DEP_3) | instskip(NEXT) | instid1(VALU_DEP_3)
	v_fma_f32 v15, v59, v61, -v0
	v_fma_f32 v17, v53, v73, -v2
	;; [unrolled: 1-line block ×3, first 2 shown]
	ds_store_2addr_b64 v84, v[3:4], v[5:6] offset0:21 offset1:24
	ds_store_2addr_b64 v84, v[12:13], v[7:8] offset0:27 offset1:30
	;; [unrolled: 1-line block ×5, first 2 shown]
.LBB0_3:
	s_or_b32 exec_lo, exec_lo, s3
	s_clause 0x1
	s_load_b64 s[2:3], s[0:1], 0x20
	s_load_b64 s[6:7], s[0:1], 0x8
	v_mov_b32_e32 v8, 0
	v_mov_b32_e32 v9, 0
	global_wb scope:SCOPE_SE
	s_wait_dscnt 0x0
	s_wait_kmcnt 0x0
	s_barrier_signal -1
	s_barrier_wait -1
	global_inv scope:SCOPE_SE
                                        ; implicit-def: $vgpr25
                                        ; implicit-def: $vgpr29
                                        ; implicit-def: $vgpr33
                                        ; implicit-def: $vgpr5
                                        ; implicit-def: $vgpr23
                                        ; implicit-def: $vgpr39
                                        ; implicit-def: $vgpr43
                                        ; implicit-def: $vgpr46
	s_and_saveexec_b32 s0, vcc_lo
	s_cbranch_execz .LBB0_5
; %bb.4:
	v_lshl_add_u32 v0, v68, 3, v64
	ds_load_2addr_b64 v[8:11], v0 offset1:3
	ds_load_2addr_b64 v[44:47], v0 offset0:6 offset1:9
	ds_load_2addr_b64 v[24:27], v0 offset0:12 offset1:15
	;; [unrolled: 1-line block ×7, first 2 shown]
	ds_load_b64 v[4:5], v0 offset:384
.LBB0_5:
	s_wait_alu 0xfffe
	s_or_b32 exec_lo, exec_lo, s0
	s_wait_dscnt 0x0
	v_dual_sub_f32 v49, v11, v5 :: v_dual_sub_f32 v48, v10, v4
	v_dual_add_f32 v76, v4, v10 :: v_dual_add_f32 v77, v5, v11
	v_dual_add_f32 v82, v22, v44 :: v_dual_sub_f32 v57, v45, v23
	s_delay_alu instid0(VALU_DEP_3) | instskip(SKIP_1) | instid1(VALU_DEP_3)
	v_dual_mul_f32 v72, 0xbeb8f4ab, v49 :: v_dual_mul_f32 v73, 0xbeb8f4ab, v48
	v_dual_sub_f32 v56, v44, v22 :: v_dual_add_f32 v83, v23, v45
	v_dual_mul_f32 v74, 0xbf2c7751, v57 :: v_dual_add_f32 v87, v21, v47
	s_delay_alu instid0(VALU_DEP_3) | instskip(NEXT) | instid1(VALU_DEP_3)
	v_fma_f32 v1, 0x3f6eb680, v77, -v73
	v_mul_f32_e32 v75, 0xbf2c7751, v56
	v_dual_fmamk_f32 v0, v76, 0x3f6eb680, v72 :: v_dual_sub_f32 v59, v47, v21
	s_delay_alu instid0(VALU_DEP_3) | instskip(NEXT) | instid1(VALU_DEP_3)
	v_dual_fmamk_f32 v2, v82, 0x3f3d2fb0, v74 :: v_dual_add_f32 v1, v1, v9
	v_fma_f32 v3, 0x3f3d2fb0, v83, -v75
	s_delay_alu instid0(VALU_DEP_3) | instskip(SKIP_2) | instid1(VALU_DEP_4)
	v_add_f32_e32 v0, v0, v8
	v_dual_sub_f32 v58, v46, v20 :: v_dual_sub_f32 v71, v24, v38
	v_add_f32_e32 v90, v25, v39
	v_dual_add_f32 v86, v20, v46 :: v_dual_add_f32 v1, v3, v1
	s_delay_alu instid0(VALU_DEP_3) | instskip(SKIP_2) | instid1(VALU_DEP_3)
	v_dual_mul_f32 v78, 0xbf65296c, v59 :: v_dual_mul_f32 v79, 0xbf65296c, v58
	v_dual_add_f32 v0, v2, v0 :: v_dual_add_f32 v99, v24, v38
	v_dual_sub_f32 v92, v25, v39 :: v_dual_sub_f32 v103, v26, v36
	v_fma_f32 v3, 0x3ee437d1, v87, -v79
	v_mul_f32_e32 v85, 0xbf7ee86f, v71
	v_fmamk_f32 v2, v86, 0x3ee437d1, v78
	v_dual_mul_f32 v84, 0x3dbcf732, v99 :: v_dual_add_f32 v95, v27, v37
	s_delay_alu instid0(VALU_DEP_4) | instskip(NEXT) | instid1(VALU_DEP_4)
	v_add_f32_e32 v1, v3, v1
	v_fma_f32 v3, 0x3dbcf732, v90, -v85
	s_delay_alu instid0(VALU_DEP_4) | instskip(SKIP_2) | instid1(VALU_DEP_4)
	v_dual_add_f32 v0, v2, v0 :: v_dual_mul_f32 v89, 0xbf763a35, v103
	v_add_f32_e32 v104, v26, v36
	v_dual_add_f32 v112, v28, v42 :: v_dual_sub_f32 v119, v30, v40
	v_dual_add_f32 v1, v3, v1 :: v_dual_sub_f32 v110, v28, v42
	s_delay_alu instid0(VALU_DEP_4) | instskip(SKIP_4) | instid1(VALU_DEP_4)
	v_fma_f32 v3, 0xbe8c1d8e, v95, -v89
	v_fmamk_f32 v2, v92, 0xbf7ee86f, v84
	v_dual_add_f32 v98, v29, v43 :: v_dual_add_f32 v127, v32, v34
	v_mul_f32_e32 v97, 0xbf06c442, v119
	v_mul_f32_e32 v93, 0xbf4c4adb, v110
	v_dual_add_f32 v1, v3, v1 :: v_dual_add_f32 v0, v2, v0
	v_dual_sub_f32 v94, v27, v37 :: v_dual_mul_f32 v91, 0xbf1a4643, v112
	v_dual_mul_f32 v88, 0xbe8c1d8e, v104 :: v_dual_add_f32 v105, v31, v41
	s_delay_alu instid0(VALU_DEP_4) | instskip(SKIP_1) | instid1(VALU_DEP_3)
	v_fma_f32 v3, 0xbf1a4643, v98, -v93
	v_dual_mul_f32 v80, 0xbf2c7751, v49 :: v_dual_mul_f32 v81, 0xbf2c7751, v48
	v_fmamk_f32 v2, v94, 0xbf763a35, v88
	v_dual_add_f32 v118, v30, v40 :: v_dual_sub_f32 v107, v33, v35
	s_delay_alu instid0(VALU_DEP_4) | instskip(SKIP_4) | instid1(VALU_DEP_3)
	v_add_f32_e32 v1, v3, v1
	v_fma_f32 v3, 0xbf59a7d5, v105, -v97
	v_sub_f32_e32 v100, v29, v43
	v_dual_add_f32 v0, v2, v0 :: v_dual_add_f32 v113, v33, v35
	v_dual_sub_f32 v106, v31, v41 :: v_dual_mul_f32 v101, 0xbf7ba420, v127
	v_dual_add_f32 v1, v3, v1 :: v_dual_fmamk_f32 v2, v100, 0xbf4c4adb, v91
	v_mul_f32_e32 v117, 0xbf4c4adb, v59
	v_fma_f32 v7, 0x3f3d2fb0, v77, -v81
	v_mul_f32_e32 v96, 0xbf59a7d5, v118
	v_mul_f32_e32 v124, 0xbf7ee86f, v56
	v_dual_add_f32 v0, v2, v0 :: v_dual_mul_f32 v115, 0xbf7ee86f, v57
	s_delay_alu instid0(VALU_DEP_4) | instskip(SKIP_1) | instid1(VALU_DEP_4)
	v_add_f32_e32 v7, v7, v9
	v_mul_f32_e32 v125, 0x3f06c442, v103
	v_fma_f32 v13, 0x3dbcf732, v83, -v124
	v_fmamk_f32 v2, v106, 0xbf06c442, v96
	v_dual_sub_f32 v128, v32, v34 :: v_dual_mul_f32 v123, 0xbe3c28d5, v71
	s_delay_alu instid0(VALU_DEP_3) | instskip(NEXT) | instid1(VALU_DEP_3)
	v_dual_mul_f32 v126, 0x3f763a35, v110 :: v_dual_add_f32 v7, v13, v7
	v_add_f32_e32 v0, v2, v0
	v_mul_f32_e32 v122, 0xbf4c4adb, v58
	v_mul_f32_e32 v114, 0x3f65296c, v119
	v_fmamk_f32 v12, v82, 0x3dbcf732, v115
	v_mul_f32_e32 v14, 0xbf4c4adb, v56
	v_mul_f32_e32 v109, 0x3ee437d1, v118
	v_fma_f32 v13, 0xbf1a4643, v87, -v122
	v_mul_f32_e32 v102, 0xbe3c28d5, v128
	v_mul_f32_e32 v116, 0x3eb8f4ab, v128
	v_fmamk_f32 v17, v83, 0xbf1a4643, v14
	v_mul_f32_e32 v121, 0xbf59a7d5, v104
	v_add_f32_e32 v7, v13, v7
	v_fma_f32 v13, 0xbf7ba420, v90, -v123
	v_fmamk_f32 v6, v76, 0x3f3d2fb0, v80
	v_fma_f32 v3, 0xbf7ba420, v113, -v102
	v_fma_f32 v15, 0x3f6eb680, v113, -v116
	s_delay_alu instid0(VALU_DEP_4) | instskip(SKIP_4) | instid1(VALU_DEP_4)
	v_dual_mul_f32 v108, 0xbe8c1d8e, v112 :: v_dual_add_f32 v7, v13, v7
	v_fma_f32 v13, 0xbf59a7d5, v95, -v125
	v_fmamk_f32 v2, v107, 0xbe3c28d5, v101
	v_dual_add_f32 v6, v6, v8 :: v_dual_mul_f32 v111, 0x3f6eb680, v127
	v_dual_mul_f32 v18, 0x3e3c28d5, v59 :: v_dual_mul_f32 v19, 0x3e3c28d5, v58
	v_add_f32_e32 v7, v13, v7
	v_fma_f32 v13, 0xbe8c1d8e, v98, -v126
	v_add_f32_e32 v61, v2, v0
	v_fma_f32 v2, 0x3ee437d1, v105, -v114
	v_add_f32_e32 v6, v12, v6
	v_fma_f32 v14, 0xbf1a4643, v83, -v14
	v_dual_add_f32 v0, v13, v7 :: v_dual_mul_f32 v7, 0xbf65296c, v48
	v_add_f32_e32 v62, v3, v1
	v_mul_f32_e32 v50, 0xbe8c1d8e, v99
	s_delay_alu instid0(VALU_DEP_3) | instskip(NEXT) | instid1(VALU_DEP_4)
	v_dual_mul_f32 v51, 0x3f2c7751, v103 :: v_dual_add_f32 v0, v2, v0
	v_fmamk_f32 v13, v77, 0x3ee437d1, v7
	v_fmamk_f32 v12, v86, 0xbf1a4643, v117
	v_fma_f32 v7, 0x3ee437d1, v77, -v7
	v_fmamk_f32 v2, v107, 0x3eb8f4ab, v111
	v_mul_f32_e32 v133, 0x3f4c4adb, v119
	v_dual_add_f32 v13, v13, v9 :: v_dual_mul_f32 v120, 0xbf7ba420, v99
	s_delay_alu instid0(VALU_DEP_4) | instskip(SKIP_1) | instid1(VALU_DEP_3)
	v_dual_add_f32 v6, v12, v6 :: v_dual_add_f32 v7, v7, v9
	v_mul_f32_e32 v139, 0x3f3d2fb0, v112
	v_dual_add_f32 v13, v17, v13 :: v_dual_fmamk_f32 v12, v92, 0xbe3c28d5, v120
	v_fmamk_f32 v17, v87, 0xbf7ba420, v19
	s_delay_alu instid0(VALU_DEP_4) | instskip(SKIP_1) | instid1(VALU_DEP_4)
	v_add_f32_e32 v7, v14, v7
	v_fma_f32 v14, 0xbf7ba420, v87, -v19
	v_dual_mul_f32 v19, 0xbe3c28d5, v56 :: v_dual_add_f32 v6, v12, v6
	v_fmamk_f32 v12, v94, 0x3f06c442, v121
	s_delay_alu instid0(VALU_DEP_3) | instskip(SKIP_1) | instid1(VALU_DEP_3)
	v_dual_mul_f32 v53, 0x3dbcf732, v118 :: v_dual_add_f32 v14, v14, v7
	v_dual_add_f32 v13, v17, v13 :: v_dual_mul_f32 v54, 0xbf7ee86f, v119
	v_add_f32_e32 v6, v12, v6
	v_fmamk_f32 v12, v100, 0x3f763a35, v108
	global_wb scope:SCOPE_SE
	s_barrier_signal -1
	s_barrier_wait -1
	global_inv scope:SCOPE_SE
	v_add_f32_e32 v6, v12, v6
	v_fmamk_f32 v12, v106, 0x3f65296c, v109
	v_mul_f32_e32 v55, 0x3f6eb680, v99
	v_mul_f32_e32 v131, 0xbf59a7d5, v112
	;; [unrolled: 1-line block ×3, first 2 shown]
	s_delay_alu instid0(VALU_DEP_4) | instskip(SKIP_1) | instid1(VALU_DEP_2)
	v_dual_add_f32 v1, v12, v6 :: v_dual_mul_f32 v12, 0xbf4c4adb, v57
	v_mul_f32_e32 v6, 0xbf65296c, v49
	v_add_f32_e32 v2, v2, v1
	s_delay_alu instid0(VALU_DEP_3) | instskip(SKIP_1) | instid1(VALU_DEP_4)
	v_fma_f32 v16, 0xbf1a4643, v82, -v12
	v_fmac_f32_e32 v12, 0xbf1a4643, v82
	v_fma_f32 v3, 0x3ee437d1, v76, -v6
	v_fmac_f32_e32 v6, 0x3ee437d1, v76
	s_delay_alu instid0(VALU_DEP_2) | instskip(NEXT) | instid1(VALU_DEP_1)
	v_add_f32_e32 v3, v3, v8
	v_dual_add_f32 v6, v6, v8 :: v_dual_add_f32 v1, v16, v3
	v_fma_f32 v16, 0xbf7ba420, v86, -v18
	v_add_f32_e32 v3, v15, v0
	v_fmamk_f32 v15, v92, 0xbf763a35, v50
	s_delay_alu instid0(VALU_DEP_4) | instskip(NEXT) | instid1(VALU_DEP_4)
	v_add_f32_e32 v6, v12, v6
	v_dual_fmac_f32 v18, 0xbf7ba420, v86 :: v_dual_add_f32 v1, v16, v1
	v_mul_f32_e32 v16, 0x3f3d2fb0, v104
	s_delay_alu instid0(VALU_DEP_2) | instskip(NEXT) | instid1(VALU_DEP_2)
	v_dual_add_f32 v6, v18, v6 :: v_dual_add_f32 v1, v15, v1
	v_fmamk_f32 v15, v94, 0xbf2c7751, v16
	s_delay_alu instid0(VALU_DEP_1) | instskip(SKIP_2) | instid1(VALU_DEP_2)
	v_dual_fmac_f32 v16, 0x3f2c7751, v94 :: v_dual_add_f32 v1, v15, v1
	v_mul_f32_e32 v15, 0x3f6eb680, v112
	v_mul_f32_e32 v52, 0xbeb8f4ab, v110
	v_fmamk_f32 v12, v100, 0x3eb8f4ab, v15
	v_fmac_f32_e32 v15, 0xbeb8f4ab, v100
	s_delay_alu instid0(VALU_DEP_2) | instskip(SKIP_1) | instid1(VALU_DEP_2)
	v_dual_add_f32 v1, v12, v1 :: v_dual_fmamk_f32 v12, v106, 0x3f7ee86f, v53
	v_fmac_f32_e32 v53, 0xbf7ee86f, v106
	v_dual_add_f32 v1, v12, v1 :: v_dual_fmac_f32 v50, 0x3f763a35, v92
	s_delay_alu instid0(VALU_DEP_1) | instskip(SKIP_1) | instid1(VALU_DEP_2)
	v_add_f32_e32 v6, v50, v6
	v_fmamk_f32 v50, v83, 0xbf7ba420, v19
	v_add_f32_e32 v6, v16, v6
	v_mul_f32_e32 v16, 0xbf06c442, v128
	s_delay_alu instid0(VALU_DEP_1) | instskip(SKIP_1) | instid1(VALU_DEP_1)
	v_fmamk_f32 v18, v113, 0xbf59a7d5, v16
	v_mul_f32_e32 v0, 0x3f763a35, v71
	v_fmamk_f32 v17, v90, 0xbe8c1d8e, v0
	s_delay_alu instid0(VALU_DEP_1) | instskip(SKIP_1) | instid1(VALU_DEP_1)
	v_add_f32_e32 v13, v17, v13
	v_fmamk_f32 v17, v95, 0x3f3d2fb0, v51
	v_add_f32_e32 v13, v17, v13
	v_fmamk_f32 v17, v98, 0x3f6eb680, v52
	v_fma_f32 v52, 0x3f6eb680, v98, -v52
	s_delay_alu instid0(VALU_DEP_2) | instskip(SKIP_2) | instid1(VALU_DEP_2)
	v_add_f32_e32 v13, v17, v13
	v_fmamk_f32 v17, v105, 0x3dbcf732, v54
	v_fma_f32 v54, 0x3dbcf732, v105, -v54
	v_dual_add_f32 v12, v17, v13 :: v_dual_mul_f32 v13, 0xbf59a7d5, v127
	s_delay_alu instid0(VALU_DEP_1) | instskip(SKIP_2) | instid1(VALU_DEP_4)
	v_fmamk_f32 v17, v107, 0x3f06c442, v13
	v_fmac_f32_e32 v13, 0xbf06c442, v107
	v_add_f32_e32 v15, v15, v6
	v_dual_add_f32 v7, v18, v12 :: v_dual_mul_f32 v12, 0xbf7ee86f, v49
	s_delay_alu instid0(VALU_DEP_4) | instskip(SKIP_1) | instid1(VALU_DEP_4)
	v_add_f32_e32 v6, v17, v1
	v_mul_f32_e32 v17, 0xbe3c28d5, v57
	v_add_f32_e32 v1, v53, v15
	v_fma_f32 v15, 0xbe8c1d8e, v90, -v0
	s_delay_alu instid0(VALU_DEP_2) | instskip(NEXT) | instid1(VALU_DEP_2)
	v_dual_mul_f32 v53, 0x3f763a35, v58 :: v_dual_add_f32 v0, v13, v1
	v_add_f32_e32 v1, v15, v14
	v_fma_f32 v14, 0x3f3d2fb0, v95, -v51
	v_mul_f32_e32 v13, 0xbf7ee86f, v48
	v_fma_f32 v15, 0x3dbcf732, v76, -v12
	v_mul_f32_e32 v51, 0x3f763a35, v59
	s_delay_alu instid0(VALU_DEP_2) | instskip(SKIP_1) | instid1(VALU_DEP_2)
	v_dual_add_f32 v1, v14, v1 :: v_dual_add_f32 v14, v15, v8
	v_fma_f32 v15, 0xbf7ba420, v82, -v17
	v_dual_add_f32 v1, v52, v1 :: v_dual_fmamk_f32 v18, v77, 0x3dbcf732, v13
	v_fma_f32 v13, 0x3dbcf732, v77, -v13
	s_delay_alu instid0(VALU_DEP_2) | instskip(NEXT) | instid1(VALU_DEP_3)
	v_dual_add_f32 v14, v15, v14 :: v_dual_add_f32 v1, v54, v1
	v_add_f32_e32 v18, v18, v9
	s_delay_alu instid0(VALU_DEP_3) | instskip(NEXT) | instid1(VALU_DEP_2)
	v_dual_add_f32 v13, v13, v9 :: v_dual_mul_f32 v54, 0xbf06c442, v110
	v_add_f32_e32 v15, v50, v18
	v_fma_f32 v18, 0xbe8c1d8e, v86, -v51
	v_fma_f32 v16, 0xbf59a7d5, v113, -v16
	v_fmamk_f32 v50, v87, 0xbe8c1d8e, v53
	v_mul_f32_e32 v129, 0x3eb8f4ab, v71
	v_fmamk_f32 v132, v98, 0xbf59a7d5, v54
	v_add_f32_e32 v14, v18, v14
	v_fmamk_f32 v18, v92, 0xbeb8f4ab, v55
	v_add_f32_e32 v1, v16, v1
	v_fma_f32 v16, 0xbf7ba420, v83, -v19
	v_add_f32_e32 v15, v50, v15
	v_fmamk_f32 v50, v90, 0x3f6eb680, v129
	v_mul_f32_e32 v52, 0x3ee437d1, v104
	s_delay_alu instid0(VALU_DEP_4) | instskip(SKIP_1) | instid1(VALU_DEP_4)
	v_dual_add_f32 v14, v18, v14 :: v_dual_add_f32 v13, v16, v13
	v_mul_f32_e32 v130, 0xbf65296c, v103
	v_add_f32_e32 v15, v50, v15
	v_mul_f32_e32 v19, 0x3f2c7751, v128
	v_fmac_f32_e32 v51, 0xbe8c1d8e, v86
	v_fmac_f32_e32 v17, 0xbf7ba420, v82
	v_fmamk_f32 v50, v95, 0x3ee437d1, v130
	v_fmac_f32_e32 v55, 0x3eb8f4ab, v92
	s_delay_alu instid0(VALU_DEP_2) | instskip(NEXT) | instid1(VALU_DEP_1)
	v_dual_add_f32 v15, v50, v15 :: v_dual_fmac_f32 v12, 0x3dbcf732, v76
	v_dual_mul_f32 v50, 0xbf1a4643, v118 :: v_dual_add_f32 v15, v132, v15
	v_fmamk_f32 v132, v105, 0xbf1a4643, v133
	s_delay_alu instid0(VALU_DEP_3) | instskip(NEXT) | instid1(VALU_DEP_1)
	v_add_f32_e32 v12, v12, v8
	v_dual_add_f32 v15, v132, v15 :: v_dual_add_f32 v12, v17, v12
	v_fma_f32 v17, 0xbe8c1d8e, v87, -v53
	v_fmamk_f32 v53, v113, 0x3f3d2fb0, v19
	v_fmamk_f32 v18, v94, 0x3f65296c, v52
	v_fma_f32 v19, 0x3f3d2fb0, v113, -v19
	s_delay_alu instid0(VALU_DEP_4) | instskip(NEXT) | instid1(VALU_DEP_3)
	v_dual_add_f32 v12, v51, v12 :: v_dual_add_f32 v13, v17, v13
	v_dual_add_f32 v17, v53, v15 :: v_dual_add_f32 v14, v18, v14
	v_dual_fmamk_f32 v18, v100, 0x3f06c442, v131 :: v_dual_mul_f32 v53, 0x3f06c442, v57
	s_delay_alu instid0(VALU_DEP_3) | instskip(SKIP_1) | instid1(VALU_DEP_3)
	v_dual_mul_f32 v51, 0xbf763a35, v49 :: v_dual_add_f32 v12, v55, v12
	v_fmac_f32_e32 v52, 0xbf65296c, v94
	v_add_f32_e32 v14, v18, v14
	v_fmamk_f32 v18, v106, 0xbf4c4adb, v50
	s_delay_alu instid0(VALU_DEP_4) | instskip(SKIP_2) | instid1(VALU_DEP_4)
	v_fma_f32 v15, 0xbe8c1d8e, v76, -v51
	v_fmac_f32_e32 v131, 0xbf06c442, v100
	v_dual_add_f32 v12, v52, v12 :: v_dual_mul_f32 v55, 0x3ee437d1, v99
	v_add_f32_e32 v14, v18, v14
	v_mul_f32_e32 v18, 0x3f3d2fb0, v127
	v_fmac_f32_e32 v51, 0xbe8c1d8e, v76
	v_mul_f32_e32 v52, 0x3f2c7751, v59
	v_add_f32_e32 v12, v131, v12
	v_fma_f32 v54, 0xbf59a7d5, v98, -v54
	v_fmamk_f32 v132, v107, 0xbf2c7751, v18
	v_add_f32_e32 v51, v51, v8
	v_mul_f32_e32 v131, 0x3f06c442, v56
	v_fmac_f32_e32 v18, 0x3f2c7751, v107
	s_delay_alu instid0(VALU_DEP_4) | instskip(SKIP_2) | instid1(VALU_DEP_2)
	v_add_f32_e32 v16, v132, v14
	v_fma_f32 v14, 0x3f6eb680, v90, -v129
	v_mul_f32_e32 v129, 0x3dbcf732, v112
	v_dual_mul_f32 v136, 0x3f7ee86f, v110 :: v_dual_add_f32 v13, v14, v13
	v_fma_f32 v14, 0x3ee437d1, v95, -v130
	s_delay_alu instid0(VALU_DEP_1) | instskip(SKIP_3) | instid1(VALU_DEP_4)
	v_dual_add_f32 v13, v14, v13 :: v_dual_add_f32 v14, v15, v8
	v_fma_f32 v15, 0xbf59a7d5, v82, -v53
	v_fmac_f32_e32 v50, 0x3f4c4adb, v106
	v_fmac_f32_e32 v53, 0xbf59a7d5, v82
	v_add_f32_e32 v13, v54, v13
	v_fma_f32 v54, 0xbf1a4643, v105, -v133
	v_add_f32_e32 v14, v15, v14
	v_fma_f32 v15, 0x3f3d2fb0, v86, -v52
	v_dual_add_f32 v12, v50, v12 :: v_dual_fmamk_f32 v133, v83, 0xbf59a7d5, v131
	s_delay_alu instid0(VALU_DEP_4) | instskip(NEXT) | instid1(VALU_DEP_3)
	v_dual_mul_f32 v50, 0xbf7ba420, v104 :: v_dual_add_f32 v13, v54, v13
	v_dual_add_f32 v14, v15, v14 :: v_dual_fmamk_f32 v15, v92, 0x3f65296c, v55
	v_dual_mul_f32 v54, 0xbf763a35, v48 :: v_dual_add_f32 v51, v53, v51
	v_fmac_f32_e32 v52, 0x3f3d2fb0, v86
	v_fma_f32 v131, 0xbf59a7d5, v83, -v131
	s_delay_alu instid0(VALU_DEP_4) | instskip(NEXT) | instid1(VALU_DEP_3)
	v_dual_add_f32 v14, v15, v14 :: v_dual_fmamk_f32 v15, v94, 0x3e3c28d5, v50
	v_dual_fmamk_f32 v130, v77, 0xbe8c1d8e, v54 :: v_dual_add_f32 v51, v52, v51
	v_fma_f32 v54, 0xbe8c1d8e, v77, -v54
	v_fmac_f32_e32 v55, 0xbf65296c, v92
	s_delay_alu instid0(VALU_DEP_4) | instskip(NEXT) | instid1(VALU_DEP_4)
	v_dual_add_f32 v15, v15, v14 :: v_dual_add_f32 v14, v18, v12
	v_add_f32_e32 v130, v130, v9
	s_delay_alu instid0(VALU_DEP_4) | instskip(SKIP_2) | instid1(VALU_DEP_3)
	v_add_f32_e32 v54, v54, v9
	v_fmamk_f32 v53, v98, 0x3dbcf732, v136
	v_dual_mul_f32 v134, 0x3f2c7751, v58 :: v_dual_add_f32 v51, v55, v51
	v_dual_mul_f32 v55, 0xbf4c4adb, v128 :: v_dual_add_f32 v54, v131, v54
	v_fmamk_f32 v132, v100, 0xbf7ee86f, v129
	v_mul_f32_e32 v131, 0xbeb8f4ab, v119
	s_delay_alu instid0(VALU_DEP_2) | instskip(SKIP_4) | instid1(VALU_DEP_1)
	v_dual_fmac_f32 v129, 0x3f7ee86f, v100 :: v_dual_add_f32 v18, v132, v15
	v_fmamk_f32 v132, v87, 0x3f3d2fb0, v134
	v_add_f32_e32 v15, v19, v13
	v_dual_mul_f32 v13, 0xbf1a4643, v127 :: v_dual_add_f32 v130, v133, v130
	v_mul_f32_e32 v133, 0xbf65296c, v71
	v_dual_add_f32 v19, v132, v130 :: v_dual_fmamk_f32 v130, v90, 0x3ee437d1, v133
	v_mul_f32_e32 v132, 0xbe3c28d5, v103
	s_delay_alu instid0(VALU_DEP_1) | instskip(NEXT) | instid1(VALU_DEP_1)
	v_dual_add_f32 v19, v130, v19 :: v_dual_fmamk_f32 v130, v95, 0xbf7ba420, v132
	v_add_f32_e32 v19, v130, v19
	v_fma_f32 v130, 0x3f3d2fb0, v87, -v134
	v_fmac_f32_e32 v50, 0xbe3c28d5, v94
	s_delay_alu instid0(VALU_DEP_3) | instskip(NEXT) | instid1(VALU_DEP_3)
	v_dual_mul_f32 v134, 0xbeb8f4ab, v58 :: v_dual_add_f32 v19, v53, v19
	v_add_f32_e32 v52, v130, v54
	v_fmamk_f32 v54, v105, 0x3f6eb680, v131
	v_mul_f32_e32 v12, 0x3f6eb680, v118
	v_mul_f32_e32 v130, 0x3f763a35, v56
	v_add_f32_e32 v50, v50, v51
	v_fma_f32 v53, 0x3ee437d1, v90, -v133
	v_add_f32_e32 v19, v54, v19
	v_fmamk_f32 v135, v106, 0x3eb8f4ab, v12
	s_delay_alu instid0(VALU_DEP_4) | instskip(SKIP_1) | instid1(VALU_DEP_3)
	v_dual_fmamk_f32 v133, v83, 0xbe8c1d8e, v130 :: v_dual_add_f32 v50, v129, v50
	v_fmac_f32_e32 v12, 0xbeb8f4ab, v106
	v_dual_fmamk_f32 v51, v113, 0xbf1a4643, v55 :: v_dual_add_f32 v18, v135, v18
	v_fmamk_f32 v135, v107, 0x3f4c4adb, v13
	v_fma_f32 v55, 0xbf1a4643, v113, -v55
	s_delay_alu instid0(VALU_DEP_4)
	v_add_f32_e32 v12, v12, v50
	v_mul_f32_e32 v50, 0xbf4c4adb, v48
	v_add_f32_e32 v52, v53, v52
	v_add_f32_e32 v18, v135, v18
	;; [unrolled: 1-line block ×3, first 2 shown]
	v_fmac_f32_e32 v13, 0xbf4c4adb, v107
	v_fmamk_f32 v129, v77, 0xbf1a4643, v50
	v_mul_f32_e32 v54, 0x3f763a35, v57
	s_delay_alu instid0(VALU_DEP_3) | instskip(NEXT) | instid1(VALU_DEP_3)
	v_dual_mul_f32 v135, 0xbf59a7d5, v99 :: v_dual_add_f32 v12, v13, v12
	v_add_f32_e32 v129, v129, v9
	v_fma_f32 v53, 0xbf7ba420, v95, -v132
	s_delay_alu instid0(VALU_DEP_2) | instskip(NEXT) | instid1(VALU_DEP_2)
	v_add_f32_e32 v129, v133, v129
	v_add_f32_e32 v52, v53, v52
	v_fma_f32 v53, 0x3dbcf732, v98, -v136
	v_fmamk_f32 v133, v87, 0x3f6eb680, v134
	s_delay_alu instid0(VALU_DEP_2)
	v_dual_mul_f32 v136, 0xbf06c442, v71 :: v_dual_add_f32 v51, v53, v52
	v_fma_f32 v52, 0x3f6eb680, v105, -v131
	v_mul_f32_e32 v53, 0xbf4c4adb, v49
	v_fma_f32 v131, 0xbe8c1d8e, v82, -v54
	v_add_f32_e32 v129, v133, v129
	v_fmamk_f32 v133, v90, 0xbf59a7d5, v136
	v_add_f32_e32 v51, v52, v51
	v_fma_f32 v52, 0xbf1a4643, v76, -v53
	v_fmac_f32_e32 v53, 0xbf1a4643, v76
	s_delay_alu instid0(VALU_DEP_4) | instskip(NEXT) | instid1(VALU_DEP_3)
	v_dual_mul_f32 v132, 0xbeb8f4ab, v59 :: v_dual_add_f32 v129, v133, v129
	v_dual_add_f32 v13, v55, v51 :: v_dual_add_f32 v52, v52, v8
	s_delay_alu instid0(VALU_DEP_3) | instskip(SKIP_1) | instid1(VALU_DEP_3)
	v_add_f32_e32 v53, v53, v8
	v_fma_f32 v50, 0xbf1a4643, v77, -v50
	v_dual_mul_f32 v55, 0xbf7ba420, v118 :: v_dual_add_f32 v52, v131, v52
	v_fma_f32 v131, 0x3f6eb680, v86, -v132
	v_fmac_f32_e32 v132, 0x3f6eb680, v86
	s_delay_alu instid0(VALU_DEP_4) | instskip(NEXT) | instid1(VALU_DEP_3)
	v_add_f32_e32 v50, v50, v9
	v_dual_add_f32 v52, v131, v52 :: v_dual_fmamk_f32 v131, v92, 0x3f06c442, v135
	v_fmac_f32_e32 v135, 0xbf06c442, v92
	s_delay_alu instid0(VALU_DEP_2) | instskip(NEXT) | instid1(VALU_DEP_1)
	v_dual_add_f32 v52, v131, v52 :: v_dual_fmamk_f32 v131, v94, 0xbf7ee86f, v137
	v_dual_fmac_f32 v137, 0x3f7ee86f, v94 :: v_dual_add_f32 v52, v131, v52
	v_fmamk_f32 v131, v100, 0x3f2c7751, v139
	s_delay_alu instid0(VALU_DEP_1) | instskip(NEXT) | instid1(VALU_DEP_1)
	v_dual_add_f32 v51, v131, v52 :: v_dual_fmac_f32 v54, 0xbe8c1d8e, v82
	v_add_f32_e32 v53, v54, v53
	s_delay_alu instid0(VALU_DEP_1) | instskip(NEXT) | instid1(VALU_DEP_1)
	v_dual_add_f32 v53, v132, v53 :: v_dual_mul_f32 v138, 0x3f7ee86f, v103
	v_add_f32_e32 v53, v135, v53
	s_delay_alu instid0(VALU_DEP_2) | instskip(NEXT) | instid1(VALU_DEP_1)
	v_fmamk_f32 v133, v95, 0x3dbcf732, v138
	v_dual_mul_f32 v140, 0xbf2c7751, v110 :: v_dual_add_f32 v129, v133, v129
	s_delay_alu instid0(VALU_DEP_1) | instskip(NEXT) | instid1(VALU_DEP_1)
	v_fmamk_f32 v133, v98, 0x3f3d2fb0, v140
	v_dual_add_f32 v52, v133, v129 :: v_dual_mul_f32 v129, 0xbe3c28d5, v119
	s_delay_alu instid0(VALU_DEP_1) | instskip(NEXT) | instid1(VALU_DEP_1)
	v_fmamk_f32 v133, v105, 0xbf7ba420, v129
	v_add_f32_e32 v54, v133, v52
	v_fma_f32 v52, 0x3f6eb680, v87, -v134
	v_fmamk_f32 v131, v106, 0x3e3c28d5, v55
	v_fma_f32 v134, 0x3dbcf732, v95, -v138
	v_fma_f32 v129, 0xbf7ba420, v105, -v129
	s_delay_alu instid0(VALU_DEP_3) | instskip(SKIP_1) | instid1(VALU_DEP_1)
	v_add_f32_e32 v51, v131, v51
	v_fma_f32 v130, 0xbe8c1d8e, v83, -v130
	v_add_f32_e32 v50, v130, v50
	s_delay_alu instid0(VALU_DEP_1) | instskip(SKIP_1) | instid1(VALU_DEP_1)
	v_add_f32_e32 v50, v52, v50
	v_fma_f32 v52, 0xbf59a7d5, v90, -v136
	v_dual_add_f32 v50, v52, v50 :: v_dual_mul_f32 v131, 0x3f65296c, v128
	s_delay_alu instid0(VALU_DEP_1) | instskip(NEXT) | instid1(VALU_DEP_2)
	v_add_f32_e32 v50, v134, v50
	v_dual_mul_f32 v130, 0x3ee437d1, v127 :: v_dual_fmamk_f32 v133, v113, 0x3ee437d1, v131
	v_fma_f32 v131, 0x3ee437d1, v113, -v131
	s_delay_alu instid0(VALU_DEP_2) | instskip(SKIP_1) | instid1(VALU_DEP_2)
	v_fmamk_f32 v132, v107, 0xbf65296c, v130
	v_fmac_f32_e32 v130, 0x3f65296c, v107
	v_dual_fmac_f32 v55, 0xbe3c28d5, v106 :: v_dual_add_f32 v52, v132, v51
	v_add_f32_e32 v51, v137, v53
	v_fma_f32 v134, 0x3f3d2fb0, v98, -v140
	v_fmac_f32_e32 v139, 0xbf2c7751, v100
	v_add_f32_e32 v53, v133, v54
	v_mul_f32_e32 v133, 0x3f65296c, v57
	s_delay_alu instid0(VALU_DEP_4) | instskip(NEXT) | instid1(VALU_DEP_4)
	v_dual_mul_f32 v57, 0x3eb8f4ab, v57 :: v_dual_add_f32 v50, v134, v50
	v_dual_mul_f32 v132, 0xbf06c442, v49 :: v_dual_add_f32 v51, v139, v51
	s_delay_alu instid0(VALU_DEP_3) | instskip(SKIP_2) | instid1(VALU_DEP_4)
	v_fma_f32 v134, 0x3ee437d1, v82, -v133
	v_fmac_f32_e32 v133, 0x3ee437d1, v82
	v_mul_f32_e32 v49, 0xbe3c28d5, v49
	v_add_f32_e32 v51, v55, v51
	v_add_f32_e32 v55, v129, v50
	v_fma_f32 v54, 0xbf59a7d5, v76, -v132
	v_fmac_f32_e32 v132, 0xbf59a7d5, v76
	s_delay_alu instid0(VALU_DEP_4) | instskip(NEXT) | instid1(VALU_DEP_4)
	v_add_f32_e32 v50, v130, v51
	v_dual_mul_f32 v130, 0xbf06c442, v48 :: v_dual_add_f32 v51, v131, v55
	s_delay_alu instid0(VALU_DEP_4) | instskip(NEXT) | instid1(VALU_DEP_2)
	v_dual_add_f32 v54, v54, v8 :: v_dual_mul_f32 v135, 0xbf7ee86f, v59
	v_dual_add_f32 v132, v132, v8 :: v_dual_fmamk_f32 v55, v77, 0xbf59a7d5, v130
	s_delay_alu instid0(VALU_DEP_2) | instskip(NEXT) | instid1(VALU_DEP_3)
	v_dual_mul_f32 v59, 0xbf06c442, v59 :: v_dual_add_f32 v54, v134, v54
	v_fma_f32 v129, 0x3dbcf732, v86, -v135
	s_delay_alu instid0(VALU_DEP_3) | instskip(NEXT) | instid1(VALU_DEP_4)
	v_dual_mul_f32 v134, 0xbf1a4643, v99 :: v_dual_add_f32 v55, v55, v9
	v_dual_add_f32 v132, v133, v132 :: v_dual_fmac_f32 v135, 0x3dbcf732, v86
	s_delay_alu instid0(VALU_DEP_2) | instskip(SKIP_1) | instid1(VALU_DEP_3)
	v_dual_add_f32 v54, v129, v54 :: v_dual_fmamk_f32 v129, v92, 0xbf4c4adb, v134
	v_mul_f32_e32 v131, 0x3f65296c, v56
	v_dual_mul_f32 v139, 0xbf7ee86f, v58 :: v_dual_add_f32 v132, v135, v132
	v_fmac_f32_e32 v134, 0x3f4c4adb, v92
	s_delay_alu instid0(VALU_DEP_4) | instskip(NEXT) | instid1(VALU_DEP_4)
	v_add_f32_e32 v54, v129, v54
	v_fmamk_f32 v138, v83, 0x3ee437d1, v131
	v_mul_f32_e32 v136, 0x3f6eb680, v104
	v_fma_f32 v131, 0x3ee437d1, v83, -v131
	v_add_f32_e32 v132, v134, v132
	v_mul_f32_e32 v135, 0xbe3c28d5, v48
	v_add_f32_e32 v55, v138, v55
	v_fmamk_f32 v129, v94, 0x3eb8f4ab, v136
	v_mul_f32_e32 v137, 0xbf7ba420, v112
	v_fmamk_f32 v138, v87, 0x3dbcf732, v139
	v_mul_f32_e32 v140, 0x3f3d2fb0, v118
	v_fmac_f32_e32 v136, 0xbeb8f4ab, v94
	s_delay_alu instid0(VALU_DEP_4) | instskip(SKIP_1) | instid1(VALU_DEP_3)
	v_dual_add_f32 v54, v129, v54 :: v_dual_fmamk_f32 v129, v100, 0x3e3c28d5, v137
	v_mul_f32_e32 v141, 0x3f4c4adb, v71
	v_dual_add_f32 v55, v138, v55 :: v_dual_add_f32 v132, v136, v132
	s_delay_alu instid0(VALU_DEP_3) | instskip(SKIP_3) | instid1(VALU_DEP_4)
	v_dual_fmac_f32 v137, 0xbe3c28d5, v100 :: v_dual_add_f32 v54, v129, v54
	v_fmamk_f32 v129, v106, 0xbf2c7751, v140
	v_mul_f32_e32 v143, 0xbe8c1d8e, v127
	v_fmac_f32_e32 v140, 0x3f2c7751, v106
	v_add_f32_e32 v132, v137, v132
	v_mul_f32_e32 v56, 0x3eb8f4ab, v56
	s_delay_alu instid0(VALU_DEP_4) | instskip(SKIP_1) | instid1(VALU_DEP_4)
	v_dual_add_f32 v54, v129, v54 :: v_dual_fmamk_f32 v129, v107, 0x3f763a35, v143
	v_dual_mul_f32 v134, 0xbf763a35, v128 :: v_dual_fmac_f32 v143, 0xbf763a35, v107
	v_add_f32_e32 v132, v140, v132
	v_mul_f32_e32 v58, 0xbf06c442, v58
	s_delay_alu instid0(VALU_DEP_4) | instskip(SKIP_4) | instid1(VALU_DEP_4)
	v_add_f32_e32 v54, v129, v54
	v_fma_f32 v129, 0xbf59a7d5, v77, -v130
	v_fma_f32 v137, 0xbf59a7d5, v86, -v59
	v_add_f32_e32 v48, v143, v132
	v_fma_f32 v132, 0x3f6eb680, v82, -v57
	v_dual_mul_f32 v104, 0xbf1a4643, v104 :: v_dual_add_f32 v129, v129, v9
	v_fmamk_f32 v138, v90, 0xbf1a4643, v141
	v_mul_f32_e32 v112, 0x3ee437d1, v112
	v_fmac_f32_e32 v57, 0x3f6eb680, v82
	v_fmac_f32_e32 v59, 0xbf59a7d5, v86
	v_add_f32_e32 v129, v131, v129
	v_fma_f32 v131, 0x3dbcf732, v87, -v139
	v_mul_f32_e32 v142, 0xbeb8f4ab, v103
	v_add_f32_e32 v55, v138, v55
	s_delay_alu instid0(VALU_DEP_3) | instskip(NEXT) | instid1(VALU_DEP_3)
	v_add_f32_e32 v129, v131, v129
	v_fmamk_f32 v138, v95, 0x3f6eb680, v142
	v_mul_f32_e32 v144, 0xbe3c28d5, v110
	v_fma_f32 v131, 0xbf1a4643, v90, -v141
	v_mul_f32_e32 v130, 0x3f2c7751, v119
	s_delay_alu instid0(VALU_DEP_4) | instskip(NEXT) | instid1(VALU_DEP_4)
	v_dual_mul_f32 v110, 0x3f65296c, v110 :: v_dual_add_f32 v55, v138, v55
	v_fmamk_f32 v133, v98, 0xbf7ba420, v144
	s_delay_alu instid0(VALU_DEP_4) | instskip(SKIP_2) | instid1(VALU_DEP_4)
	v_add_f32_e32 v129, v131, v129
	v_fma_f32 v131, 0x3f6eb680, v95, -v142
	v_fma_f32 v136, 0xbf7ba420, v98, -v144
	v_add_f32_e32 v55, v133, v55
	v_fmamk_f32 v133, v105, 0x3f3d2fb0, v130
	s_delay_alu instid0(VALU_DEP_4) | instskip(SKIP_1) | instid1(VALU_DEP_3)
	v_add_f32_e32 v129, v131, v129
	v_fma_f32 v130, 0x3f3d2fb0, v105, -v130
	v_add_f32_e32 v55, v133, v55
	v_fmamk_f32 v133, v113, 0xbe8c1d8e, v134
	s_delay_alu instid0(VALU_DEP_4) | instskip(NEXT) | instid1(VALU_DEP_2)
	v_add_f32_e32 v129, v136, v129
	v_add_f32_e32 v55, v133, v55
	v_fma_f32 v133, 0xbf7ba420, v76, -v49
	s_delay_alu instid0(VALU_DEP_1) | instskip(SKIP_1) | instid1(VALU_DEP_1)
	v_add_f32_e32 v131, v133, v8
	v_fmamk_f32 v133, v77, 0xbf7ba420, v135
	v_dual_add_f32 v131, v132, v131 :: v_dual_add_f32 v132, v133, v9
	v_fmamk_f32 v133, v83, 0x3f6eb680, v56
	v_fma_f32 v56, 0x3f6eb680, v83, -v56
	s_delay_alu instid0(VALU_DEP_2) | instskip(SKIP_2) | instid1(VALU_DEP_3)
	v_dual_add_f32 v132, v133, v132 :: v_dual_fmamk_f32 v133, v87, 0xbf59a7d5, v58
	v_mul_f32_e32 v99, 0x3f3d2fb0, v99
	v_fmac_f32_e32 v49, 0xbf7ba420, v76
	v_dual_add_f32 v132, v133, v132 :: v_dual_mul_f32 v71, 0x3f2c7751, v71
	s_delay_alu instid0(VALU_DEP_3) | instskip(NEXT) | instid1(VALU_DEP_3)
	v_dual_add_f32 v131, v137, v131 :: v_dual_fmamk_f32 v136, v92, 0xbf2c7751, v99
	v_add_f32_e32 v49, v49, v8
	v_fmac_f32_e32 v99, 0x3f2c7751, v92
	s_delay_alu instid0(VALU_DEP_4) | instskip(NEXT) | instid1(VALU_DEP_4)
	v_fmamk_f32 v133, v90, 0x3f3d2fb0, v71
	v_dual_add_f32 v131, v136, v131 :: v_dual_fmamk_f32 v136, v94, 0x3f4c4adb, v104
	s_delay_alu instid0(VALU_DEP_2) | instskip(SKIP_4) | instid1(VALU_DEP_4)
	v_dual_add_f32 v129, v130, v129 :: v_dual_add_f32 v132, v133, v132
	v_mul_f32_e32 v103, 0xbf4c4adb, v103
	v_fma_f32 v130, 0xbe8c1d8e, v113, -v134
	v_dual_fmamk_f32 v134, v100, 0xbf65296c, v112 :: v_dual_add_f32 v49, v57, v49
	v_fma_f32 v57, 0xbf59a7d5, v87, -v58
	v_fmamk_f32 v133, v95, 0xbf1a4643, v103
	v_mul_f32_e32 v58, 0xbe8c1d8e, v118
	v_mul_f32_e32 v118, 0xbf763a35, v119
	v_dual_add_f32 v131, v136, v131 :: v_dual_fmac_f32 v104, 0xbf4c4adb, v94
	s_delay_alu instid0(VALU_DEP_4) | instskip(SKIP_1) | instid1(VALU_DEP_3)
	v_add_f32_e32 v132, v133, v132
	v_fma_f32 v133, 0xbf7ba420, v77, -v135
	v_dual_fmac_f32 v112, 0x3f65296c, v100 :: v_dual_add_f32 v131, v134, v131
	s_delay_alu instid0(VALU_DEP_2) | instskip(NEXT) | instid1(VALU_DEP_1)
	v_add_f32_e32 v133, v133, v9
	v_add_f32_e32 v56, v56, v133
	s_delay_alu instid0(VALU_DEP_1) | instskip(SKIP_2) | instid1(VALU_DEP_2)
	v_add_f32_e32 v56, v57, v56
	v_fma_f32 v57, 0x3f3d2fb0, v90, -v71
	v_fmamk_f32 v71, v105, 0xbe8c1d8e, v118
	v_add_f32_e32 v56, v57, v56
	v_fma_f32 v57, 0xbf1a4643, v95, -v103
	v_mul_f32_e32 v103, 0x3f7ee86f, v128
	s_delay_alu instid0(VALU_DEP_2) | instskip(SKIP_1) | instid1(VALU_DEP_1)
	v_dual_add_f32 v49, v59, v49 :: v_dual_add_f32 v56, v57, v56
	v_fma_f32 v57, 0x3ee437d1, v98, -v110
	v_add_f32_e32 v56, v57, v56
	v_fma_f32 v57, 0xbe8c1d8e, v105, -v118
	v_fmamk_f32 v135, v98, 0x3ee437d1, v110
	v_dual_fmamk_f32 v110, v113, 0x3dbcf732, v103 :: v_dual_add_f32 v49, v99, v49
	v_mul_f32_e32 v99, 0x3dbcf732, v127
	v_fma_f32 v103, 0x3dbcf732, v113, -v103
	s_delay_alu instid0(VALU_DEP_2) | instskip(SKIP_2) | instid1(VALU_DEP_3)
	v_dual_add_f32 v49, v104, v49 :: v_dual_fmamk_f32 v104, v107, 0xbf7ee86f, v99
	v_fmac_f32_e32 v99, 0x3f7ee86f, v107
	v_fmamk_f32 v59, v106, 0x3f763a35, v58
	v_dual_fmac_f32 v58, 0xbf763a35, v106 :: v_dual_add_f32 v49, v112, v49
	v_add_f32_e32 v112, v57, v56
	v_add_f32_e32 v132, v135, v132
	s_delay_alu instid0(VALU_DEP_3) | instskip(SKIP_1) | instid1(VALU_DEP_3)
	v_add_f32_e32 v58, v58, v49
	v_add_f32_e32 v49, v130, v129
	;; [unrolled: 1-line block ×3, first 2 shown]
	s_delay_alu instid0(VALU_DEP_3) | instskip(SKIP_1) | instid1(VALU_DEP_3)
	v_add_f32_e32 v58, v99, v58
	v_add_f32_e32 v59, v59, v131
	;; [unrolled: 1-line block ×3, first 2 shown]
	v_mul_lo_u16 v71, v69, 17
	s_delay_alu instid0(VALU_DEP_3)
	v_dual_add_f32 v56, v104, v59 :: v_dual_add_f32 v59, v103, v112
	s_and_saveexec_b32 s0, vcc_lo
	s_cbranch_execz .LBB0_7
; %bb.6:
	v_mul_f32_e32 v104, 0x3f3d2fb0, v82
	v_mul_f32_e32 v82, 0x3dbcf732, v82
	;; [unrolled: 1-line block ×6, first 2 shown]
	v_dual_mul_f32 v129, 0xbe8c1d8e, v95 :: v_dual_add_f32 v10, v10, v8
	s_delay_alu instid0(VALU_DEP_4) | instskip(NEXT) | instid1(VALU_DEP_3)
	v_dual_sub_f32 v76, v76, v80 :: v_dual_mul_f32 v127, 0x3dbcf732, v90
	v_dual_add_f32 v77, v81, v77 :: v_dual_mul_f32 v110, 0x3f3d2fb0, v83
	v_mul_f32_e32 v83, 0x3dbcf732, v83
	v_mul_f32_e32 v112, 0x3ee437d1, v86
	s_delay_alu instid0(VALU_DEP_3) | instskip(SKIP_1) | instid1(VALU_DEP_4)
	v_dual_mul_f32 v86, 0xbf1a4643, v86 :: v_dual_add_f32 v77, v77, v9
	v_add_f32_e32 v76, v76, v8
	v_add_f32_e32 v83, v124, v83
	v_mul_f32_e32 v118, 0x3ee437d1, v87
	v_mul_f32_e32 v87, 0xbf1a4643, v87
	;; [unrolled: 1-line block ×3, first 2 shown]
	s_delay_alu instid0(VALU_DEP_4) | instskip(SKIP_1) | instid1(VALU_DEP_4)
	v_dual_mul_f32 v92, 0xbe3c28d5, v92 :: v_dual_add_f32 v77, v83, v77
	v_sub_f32_e32 v82, v82, v115
	v_dual_add_f32 v83, v122, v87 :: v_dual_mul_f32 v90, 0xbf7ba420, v90
	v_mul_f32_e32 v128, 0xbf763a35, v94
	s_delay_alu instid0(VALU_DEP_3) | instskip(SKIP_1) | instid1(VALU_DEP_4)
	v_dual_mul_f32 v81, 0x3f06c442, v94 :: v_dual_add_f32 v76, v82, v76
	v_dual_mul_f32 v94, 0xbf59a7d5, v95 :: v_dual_mul_f32 v87, 0xbf59a7d5, v105
	v_add_f32_e32 v77, v83, v77
	v_add_f32_e32 v83, v90, v123
	v_dual_mul_f32 v90, 0xbe3c28d5, v107 :: v_dual_add_f32 v11, v11, v9
	v_mul_f32_e32 v130, 0xbf1a4643, v98
	s_delay_alu instid0(VALU_DEP_3) | instskip(SKIP_4) | instid1(VALU_DEP_3)
	v_dual_mul_f32 v80, 0xbe8c1d8e, v98 :: v_dual_add_f32 v77, v83, v77
	v_mul_f32_e32 v95, 0xbf4c4adb, v100
	v_dual_mul_f32 v100, 0x3f763a35, v100 :: v_dual_add_f32 v83, v94, v125
	v_sub_f32_e32 v82, v86, v117
	v_dual_mul_f32 v86, 0x3ee437d1, v105 :: v_dual_add_f32 v11, v45, v11
	v_dual_mul_f32 v98, 0xbf06c442, v106 :: v_dual_add_f32 v77, v83, v77
	v_add_f32_e32 v80, v80, v126
	s_delay_alu instid0(VALU_DEP_4) | instskip(NEXT) | instid1(VALU_DEP_4)
	v_add_f32_e32 v76, v82, v76
	v_dual_sub_f32 v82, v120, v92 :: v_dual_add_f32 v11, v47, v11
	v_mul_f32_e32 v94, 0x3f6eb680, v113
	v_dual_mul_f32 v106, 0x3f65296c, v106 :: v_dual_sub_f32 v81, v121, v81
	v_add_f32_e32 v77, v80, v77
	s_delay_alu instid0(VALU_DEP_4) | instskip(SKIP_1) | instid1(VALU_DEP_2)
	v_dual_add_f32 v11, v25, v11 :: v_dual_add_f32 v80, v86, v114
	v_dual_mul_f32 v47, 0x3eb8f4ab, v107 :: v_dual_add_f32 v10, v44, v10
	v_dual_mul_f32 v92, 0xbf7ba420, v113 :: v_dual_add_f32 v11, v27, v11
	s_delay_alu instid0(VALU_DEP_3) | instskip(SKIP_1) | instid1(VALU_DEP_4)
	v_dual_add_f32 v76, v82, v76 :: v_dual_add_f32 v45, v80, v77
	v_sub_f32_e32 v44, v108, v100
	v_dual_add_f32 v10, v46, v10 :: v_dual_sub_f32 v27, v99, v72
	s_delay_alu instid0(VALU_DEP_3) | instskip(SKIP_2) | instid1(VALU_DEP_2)
	v_add_f32_e32 v76, v81, v76
	v_add_f32_e32 v11, v29, v11
	;; [unrolled: 1-line block ×3, first 2 shown]
	v_dual_add_f32 v44, v44, v76 :: v_dual_add_f32 v11, v31, v11
	v_add_f32_e32 v24, v24, v10
	s_delay_alu instid0(VALU_DEP_3) | instskip(NEXT) | instid1(VALU_DEP_2)
	v_add_f32_e32 v10, v77, v45
	v_dual_add_f32 v11, v33, v11 :: v_dual_add_f32 v24, v26, v24
	s_delay_alu instid0(VALU_DEP_1) | instskip(SKIP_2) | instid1(VALU_DEP_3)
	v_dual_add_f32 v11, v35, v11 :: v_dual_add_f32 v24, v28, v24
	v_add_f32_e32 v28, v75, v110
	v_sub_f32_e32 v46, v109, v106
	v_dual_add_f32 v8, v27, v8 :: v_dual_add_f32 v11, v41, v11
	s_delay_alu instid0(VALU_DEP_4) | instskip(NEXT) | instid1(VALU_DEP_3)
	v_dual_sub_f32 v27, v104, v74 :: v_dual_add_f32 v24, v30, v24
	v_dual_add_f32 v25, v46, v44 :: v_dual_add_f32 v44, v73, v103
	s_delay_alu instid0(VALU_DEP_3) | instskip(NEXT) | instid1(VALU_DEP_3)
	v_add_f32_e32 v11, v43, v11
	v_dual_add_f32 v8, v27, v8 :: v_dual_sub_f32 v27, v112, v78
	s_delay_alu instid0(VALU_DEP_4) | instskip(NEXT) | instid1(VALU_DEP_4)
	v_add_f32_e32 v24, v32, v24
	v_add_f32_e32 v9, v44, v9
	s_delay_alu instid0(VALU_DEP_3) | instskip(SKIP_1) | instid1(VALU_DEP_3)
	v_dual_add_f32 v11, v37, v11 :: v_dual_add_f32 v8, v27, v8
	v_sub_f32_e32 v27, v84, v119
	v_dual_add_f32 v9, v28, v9 :: v_dual_add_f32 v28, v79, v118
	s_delay_alu instid0(VALU_DEP_3) | instskip(NEXT) | instid1(VALU_DEP_3)
	v_dual_add_f32 v24, v34, v24 :: v_dual_add_f32 v11, v39, v11
	v_add_f32_e32 v8, v27, v8
	v_sub_f32_e32 v27, v88, v128
	s_delay_alu instid0(VALU_DEP_4) | instskip(NEXT) | instid1(VALU_DEP_4)
	v_add_f32_e32 v9, v28, v9
	v_dual_add_f32 v28, v127, v85 :: v_dual_add_f32 v11, v21, v11
	s_delay_alu instid0(VALU_DEP_3) | instskip(SKIP_1) | instid1(VALU_DEP_3)
	v_dual_add_f32 v21, v92, v102 :: v_dual_add_f32 v8, v27, v8
	v_dual_sub_f32 v27, v91, v95 :: v_dual_add_f32 v24, v40, v24
	v_add_f32_e32 v11, v23, v11
	s_delay_alu instid0(VALU_DEP_2) | instskip(SKIP_4) | instid1(VALU_DEP_2)
	v_dual_add_f32 v8, v27, v8 :: v_dual_and_b32 v23, 0xffff, v71
	v_dual_sub_f32 v27, v96, v98 :: v_dual_sub_f32 v26, v111, v47
	v_add_f32_e32 v9, v28, v9
	v_add_f32_e32 v28, v129, v89
	v_dual_add_f32 v24, v42, v24 :: v_dual_add_f32 v5, v5, v11
	v_add_f32_e32 v9, v28, v9
	v_add_f32_e32 v28, v130, v93
	s_delay_alu instid0(VALU_DEP_1) | instskip(SKIP_1) | instid1(VALU_DEP_1)
	v_add_f32_e32 v9, v28, v9
	v_add_f32_e32 v28, v87, v97
	;; [unrolled: 1-line block ×3, first 2 shown]
	s_delay_alu instid0(VALU_DEP_1) | instskip(NEXT) | instid1(VALU_DEP_1)
	v_dual_add_f32 v24, v36, v24 :: v_dual_add_f32 v21, v21, v9
	v_add_f32_e32 v24, v38, v24
	v_dual_add_f32 v9, v26, v25 :: v_dual_add_f32 v8, v27, v8
	s_delay_alu instid0(VALU_DEP_2) | instskip(SKIP_1) | instid1(VALU_DEP_2)
	v_add_f32_e32 v20, v20, v24
	v_sub_f32_e32 v24, v101, v90
	v_add_f32_e32 v22, v22, v20
	s_delay_alu instid0(VALU_DEP_2) | instskip(SKIP_1) | instid1(VALU_DEP_3)
	v_add_f32_e32 v20, v24, v8
	v_add_lshl_u32 v8, v68, v23, 3
	v_add_f32_e32 v4, v4, v22
	ds_store_2addr_b64 v8, v[4:5], v[20:21] offset1:1
	ds_store_2addr_b64 v8, v[9:10], v[6:7] offset0:2 offset1:3
	ds_store_2addr_b64 v8, v[16:17], v[18:19] offset0:4 offset1:5
	;; [unrolled: 1-line block ×7, first 2 shown]
	ds_store_b64 v8, v[61:62] offset:128
.LBB0_7:
	s_wait_alu 0xfffe
	s_or_b32 exec_lo, exec_lo, s0
	v_lshlrev_b32_e32 v4, 4, v69
	s_load_b128 s[0:3], s[2:3], 0x0
	global_wb scope:SCOPE_SE
	s_wait_dscnt 0x0
	s_wait_kmcnt 0x0
	s_barrier_signal -1
	s_barrier_wait -1
	global_inv scope:SCOPE_SE
	global_load_b128 v[8:11], v4, s[6:7]
	v_add_lshl_u32 v33, v68, v69, 3
	ds_load_2addr_b64 v[20:23], v33 offset1:17
	ds_load_b64 v[4:5], v33 offset:272
	v_lshl_add_u32 v32, v69, 3, v70
	s_wait_loadcnt_dscnt 0x0
	v_dual_mul_f32 v25, v5, v11 :: v_dual_mul_f32 v24, v23, v9
	v_dual_mul_f32 v27, v4, v11 :: v_dual_mul_f32 v26, v22, v9
	s_delay_alu instid0(VALU_DEP_2) | instskip(NEXT) | instid1(VALU_DEP_2)
	v_fma_f32 v22, v22, v8, -v24
	v_dual_fmac_f32 v27, v5, v10 :: v_dual_fmac_f32 v26, v23, v8
	s_delay_alu instid0(VALU_DEP_4) | instskip(NEXT) | instid1(VALU_DEP_3)
	v_fma_f32 v24, v4, v10, -v25
	v_add_f32_e32 v23, v20, v22
	s_delay_alu instid0(VALU_DEP_3) | instskip(SKIP_1) | instid1(VALU_DEP_4)
	v_add_f32_e32 v5, v26, v27
	v_dual_sub_f32 v25, v26, v27 :: v_dual_add_f32 v26, v21, v26
	v_sub_f32_e32 v28, v22, v24
	s_delay_alu instid0(VALU_DEP_3) | instskip(SKIP_1) | instid1(VALU_DEP_1)
	v_fma_f32 v5, -0.5, v5, v21
	v_add_f32_e32 v4, v22, v24
	v_fma_f32 v4, -0.5, v4, v20
	s_delay_alu instid0(VALU_DEP_3) | instskip(SKIP_1) | instid1(VALU_DEP_3)
	v_dual_add_f32 v20, v23, v24 :: v_dual_fmamk_f32 v23, v28, 0xbf5db3d7, v5
	v_add_f32_e32 v21, v26, v27
	v_dual_fmac_f32 v5, 0x3f5db3d7, v28 :: v_dual_fmamk_f32 v22, v25, 0x3f5db3d7, v4
	v_fmac_f32_e32 v4, 0xbf5db3d7, v25
	ds_store_2addr_b64 v32, v[20:21], v[22:23] offset1:17
	ds_store_b64 v32, v[4:5] offset:272
	global_wb scope:SCOPE_SE
	s_wait_dscnt 0x0
	s_barrier_signal -1
	s_barrier_wait -1
	global_inv scope:SCOPE_SE
	s_and_saveexec_b32 s8, vcc_lo
	s_cbranch_execz .LBB0_9
; %bb.8:
	s_add_nc_u64 s[6:7], s[4:5], 0x198
	s_clause 0x10
	global_load_b64 v[46:47], v64, s[4:5] offset:408
	global_load_b64 v[84:85], v64, s[6:7] offset:24
	;; [unrolled: 1-line block ×17, first 2 shown]
	ds_load_2addr_b64 v[24:27], v32 offset1:3
	ds_load_2addr_b64 v[28:31], v32 offset0:6 offset1:9
	ds_load_2addr_b64 v[34:37], v32 offset0:12 offset1:15
	;; [unrolled: 1-line block ×7, first 2 shown]
	ds_load_b64 v[116:117], v32 offset:384
	s_wait_loadcnt_dscnt 0x1008
	v_mul_f32_e32 v118, v25, v47
	s_wait_loadcnt 0xf
	v_dual_mul_f32 v119, v24, v47 :: v_dual_mul_f32 v120, v27, v85
	v_mul_f32_e32 v47, v26, v85
	s_wait_loadcnt_dscnt 0xd07
	v_dual_mul_f32 v121, v29, v87 :: v_dual_mul_f32 v122, v31, v89
	s_wait_loadcnt_dscnt 0xb06
	v_dual_mul_f32 v85, v28, v87 :: v_dual_mul_f32 v124, v37, v93
	v_mul_f32_e32 v87, v30, v89
	s_wait_loadcnt_dscnt 0x905
	v_dual_mul_f32 v123, v35, v91 :: v_dual_mul_f32 v126, v41, v97
	s_wait_loadcnt_dscnt 0x704
	v_dual_mul_f32 v89, v34, v91 :: v_dual_mul_f32 v128, v45, v101
	v_mul_f32_e32 v91, v36, v93
	v_mul_f32_e32 v125, v39, v95
	s_wait_loadcnt_dscnt 0x503
	v_dual_mul_f32 v93, v38, v95 :: v_dual_mul_f32 v130, v75, v105
	v_mul_f32_e32 v95, v40, v97
	v_mul_f32_e32 v127, v43, v99
	s_wait_loadcnt_dscnt 0x302
	v_dual_mul_f32 v97, v42, v99 :: v_dual_mul_f32 v132, v79, v109
	v_mul_f32_e32 v99, v44, v101
	s_wait_loadcnt_dscnt 0x101
	v_dual_mul_f32 v129, v73, v103 :: v_dual_mul_f32 v134, v83, v113
	v_mul_f32_e32 v101, v72, v103
	v_mul_f32_e32 v103, v74, v105
	;; [unrolled: 1-line block ×8, first 2 shown]
	s_wait_loadcnt_dscnt 0x0
	v_mul_f32_e32 v135, v117, v115
	v_mul_f32_e32 v113, v116, v115
	v_fma_f32 v118, v24, v46, -v118
	v_fmac_f32_e32 v119, v25, v46
	v_fma_f32 v46, v26, v84, -v120
	v_fmac_f32_e32 v47, v27, v84
	;; [unrolled: 2-line block ×17, first 2 shown]
	ds_store_2addr_b64 v32, v[118:119], v[46:47] offset1:3
	ds_store_2addr_b64 v32, v[84:85], v[86:87] offset0:6 offset1:9
	ds_store_2addr_b64 v32, v[88:89], v[90:91] offset0:12 offset1:15
	;; [unrolled: 1-line block ×7, first 2 shown]
	ds_store_b64 v32, v[112:113] offset:384
.LBB0_9:
	s_wait_alu 0xfffe
	s_or_b32 exec_lo, exec_lo, s8
	global_wb scope:SCOPE_SE
	s_wait_dscnt 0x0
	s_barrier_signal -1
	s_barrier_wait -1
	global_inv scope:SCOPE_SE
	s_and_saveexec_b32 s6, vcc_lo
	s_cbranch_execz .LBB0_11
; %bb.10:
	ds_load_2addr_b64 v[20:23], v32 offset1:3
	ds_load_2addr_b64 v[4:7], v32 offset0:6 offset1:9
	ds_load_2addr_b64 v[16:19], v32 offset0:12 offset1:15
	ds_load_2addr_b64 v[52:55], v32 offset0:18 offset1:21
	ds_load_2addr_b64 v[56:59], v32 offset0:24 offset1:27
	ds_load_2addr_b64 v[48:51], v32 offset0:30 offset1:33
	ds_load_2addr_b64 v[12:15], v32 offset0:36 offset1:39
	ds_load_2addr_b64 v[0:3], v32 offset0:42 offset1:45
	ds_load_b64 v[61:62], v32 offset:384
.LBB0_11:
	s_wait_alu 0xfffe
	s_or_b32 exec_lo, exec_lo, s6
	global_wb scope:SCOPE_SE
	s_wait_dscnt 0x0
	s_barrier_signal -1
	s_barrier_wait -1
	global_inv scope:SCOPE_SE
	s_and_saveexec_b32 s6, vcc_lo
	s_cbranch_execz .LBB0_13
; %bb.12:
	v_dual_add_f32 v128, v62, v23 :: v_dual_sub_f32 v111, v16, v14
	v_dual_sub_f32 v39, v22, v61 :: v_dual_sub_f32 v36, v4, v2
	v_dual_add_f32 v124, v3, v5 :: v_dual_add_f32 v121, v1, v7
	s_delay_alu instid0(VALU_DEP_3) | instskip(SKIP_1) | instid1(VALU_DEP_3)
	v_dual_mul_f32 v86, 0xbf7ba420, v128 :: v_dual_add_f32 v35, v19, v13
	v_dual_sub_f32 v37, v6, v0 :: v_dual_add_f32 v34, v17, v15
	v_dual_mul_f32 v87, 0x3f6eb680, v124 :: v_dual_add_f32 v38, v53, v51
	s_delay_alu instid0(VALU_DEP_3) | instskip(NEXT) | instid1(VALU_DEP_2)
	v_dual_fmamk_f32 v24, v39, 0x3e3c28d5, v86 :: v_dual_sub_f32 v113, v52, v50
	v_dual_sub_f32 v112, v18, v12 :: v_dual_fmamk_f32 v25, v36, 0xbeb8f4ab, v87
	v_dual_mul_f32 v88, 0xbf59a7d5, v121 :: v_dual_add_f32 v41, v61, v22
	s_delay_alu instid0(VALU_DEP_3) | instskip(NEXT) | instid1(VALU_DEP_4)
	v_dual_sub_f32 v149, v5, v3 :: v_dual_mul_f32 v74, 0x3f65296c, v113
	v_add_f32_e32 v24, v21, v24
	v_dual_mul_f32 v76, 0x3f2c7751, v111 :: v_dual_add_f32 v43, v2, v4
	s_delay_alu instid0(VALU_DEP_4) | instskip(SKIP_1) | instid1(VALU_DEP_4)
	v_dual_fmamk_f32 v26, v37, 0x3f06c442, v88 :: v_dual_sub_f32 v117, v54, v48
	v_dual_sub_f32 v148, v23, v62 :: v_dual_mul_f32 v81, 0xbf4c4adb, v112
	v_dual_mul_f32 v83, 0x3eb8f4ab, v149 :: v_dual_add_f32 v24, v25, v24
	v_sub_f32_e32 v151, v7, v1
	v_fma_f32 v25, 0x3f3d2fb0, v34, -v76
	s_delay_alu instid0(VALU_DEP_4) | instskip(SKIP_3) | instid1(VALU_DEP_4)
	v_mul_f32_e32 v84, 0xbe3c28d5, v148
	v_dual_sub_f32 v150, v53, v51 :: v_dual_mul_f32 v91, 0x3dbcf732, v121
	v_add_f32_e32 v24, v26, v24
	v_fma_f32 v26, 0xbf1a4643, v35, -v81
	v_fmamk_f32 v27, v41, 0xbf7ba420, v84
	v_mul_f32_e32 v77, 0xbf763a35, v117
	v_dual_sub_f32 v156, v19, v13 :: v_dual_add_f32 v47, v52, v50
	v_add_f32_e32 v24, v25, v24
	v_fma_f32 v25, 0x3ee437d1, v38, -v74
	v_dual_add_f32 v27, v20, v27 :: v_dual_add_f32 v40, v55, v49
	s_delay_alu instid0(VALU_DEP_4) | instskip(NEXT) | instid1(VALU_DEP_4)
	v_mul_f32_e32 v75, 0xbf4c4adb, v156
	v_dual_add_f32 v24, v26, v24 :: v_dual_add_f32 v45, v16, v14
	v_dual_fmamk_f32 v26, v43, 0x3f6eb680, v83 :: v_dual_sub_f32 v125, v56, v58
	v_dual_mul_f32 v82, 0x3f65296c, v150 :: v_dual_mul_f32 v107, 0x3f65296c, v149
	s_delay_alu instid0(VALU_DEP_2)
	v_dual_add_f32 v24, v25, v24 :: v_dual_add_f32 v25, v26, v27
	v_add_f32_e32 v44, v0, v6
	v_mul_f32_e32 v78, 0xbf06c442, v151
	v_dual_sub_f32 v154, v17, v15 :: v_dual_mul_f32 v79, 0x3f7ee86f, v125
	v_fma_f32 v27, 0xbe8c1d8e, v40, -v77
	v_dual_mul_f32 v90, 0x3ee437d1, v124 :: v_dual_fmamk_f32 v31, v43, 0x3ee437d1, v107
	v_add_f32_e32 v42, v57, v59
	v_dual_sub_f32 v158, v55, v49 :: v_dual_mul_f32 v93, 0xbeb8f4ab, v112
	v_dual_mul_f32 v80, 0x3f2c7751, v154 :: v_dual_sub_f32 v157, v57, v59
	s_delay_alu instid0(VALU_DEP_2) | instskip(NEXT) | instid1(VALU_DEP_4)
	v_dual_add_f32 v24, v27, v24 :: v_dual_mul_f32 v85, 0xbf763a35, v158
	v_fma_f32 v27, 0x3dbcf732, v42, -v79
	v_fmamk_f32 v26, v44, 0xbf59a7d5, v78
	v_dual_add_f32 v46, v18, v12 :: v_dual_fmamk_f32 v29, v47, 0x3ee437d1, v82
	v_dual_add_f32 v73, v56, v58 :: v_dual_mul_f32 v106, 0xbf06c442, v148
	s_delay_alu instid0(VALU_DEP_3) | instskip(SKIP_3) | instid1(VALU_DEP_4)
	v_dual_add_f32 v25, v26, v25 :: v_dual_fmamk_f32 v26, v45, 0x3f3d2fb0, v80
	v_mul_f32_e32 v94, 0xbf59a7d5, v128
	v_mul_f32_e32 v92, 0x3f4c4adb, v111
	;; [unrolled: 1-line block ×3, first 2 shown]
	v_dual_mul_f32 v108, 0xbf7ee86f, v151 :: v_dual_add_f32 v25, v26, v25
	v_fmamk_f32 v26, v46, 0xbf1a4643, v75
	v_add_f32_e32 v72, v54, v48
	v_mul_f32_e32 v145, 0xbf763a35, v148
	v_mul_f32_e32 v102, 0xbe8c1d8e, v124
	v_add_f32_e32 v166, v23, v21
	v_dual_add_f32 v26, v26, v25 :: v_dual_add_f32 v25, v27, v24
	v_fmamk_f32 v27, v36, 0xbf65296c, v90
	v_mul_f32_e32 v99, 0xbe3c28d5, v113
	s_delay_alu instid0(VALU_DEP_4) | instskip(NEXT) | instid1(VALU_DEP_4)
	v_dual_mul_f32 v138, 0xbf59a7d5, v124 :: v_dual_add_f32 v5, v5, v166
	v_add_f32_e32 v26, v29, v26
	v_fmamk_f32 v29, v41, 0xbf59a7d5, v106
	v_fmamk_f32 v28, v39, 0x3f06c442, v94
	v_fma_f32 v30, 0xbf7ba420, v38, -v99
	v_mul_f32_e32 v105, 0xbf1a4643, v128
	v_mul_f32_e32 v95, 0x3f6eb680, v121
	s_delay_alu instid0(VALU_DEP_4) | instskip(SKIP_2) | instid1(VALU_DEP_3)
	v_dual_add_f32 v29, v20, v29 :: v_dual_add_f32 v24, v21, v28
	v_fmamk_f32 v28, v72, 0xbe8c1d8e, v85
	v_dual_mul_f32 v130, 0xbe3c28d5, v158 :: v_dual_add_f32 v5, v7, v5
	v_dual_mul_f32 v147, 0x3f06c442, v149 :: v_dual_add_f32 v24, v27, v24
	s_delay_alu instid0(VALU_DEP_3) | instskip(SKIP_3) | instid1(VALU_DEP_4)
	v_dual_fmamk_f32 v27, v37, 0x3f7ee86f, v91 :: v_dual_add_f32 v26, v28, v26
	v_fmamk_f32 v28, v73, 0x3dbcf732, v89
	v_mul_f32_e32 v98, 0x3f2c7751, v117
	v_dual_mul_f32 v122, 0xbe3c28d5, v150 :: v_dual_mul_f32 v103, 0xbe3c28d5, v117
	v_add_f32_e32 v24, v27, v24
	v_fma_f32 v27, 0xbf1a4643, v34, -v92
	v_mul_f32_e32 v135, 0xbe8c1d8e, v128
	v_dual_fmamk_f32 v132, v43, 0xbf59a7d5, v147 :: v_dual_add_f32 v5, v17, v5
	v_mul_f32_e32 v152, 0x3dbcf732, v128
	s_delay_alu instid0(VALU_DEP_4) | instskip(SKIP_2) | instid1(VALU_DEP_4)
	v_add_f32_e32 v24, v27, v24
	v_fma_f32 v27, 0x3f6eb680, v35, -v93
	v_mul_f32_e32 v110, 0x3f4c4adb, v154
	v_dual_mul_f32 v126, 0x3f7ee86f, v156 :: v_dual_fmamk_f32 v143, v39, 0x3f7ee86f, v152
	v_fmamk_f32 v116, v39, 0x3f763a35, v135
	s_delay_alu instid0(VALU_DEP_4) | instskip(SKIP_1) | instid1(VALU_DEP_2)
	v_dual_add_f32 v27, v27, v24 :: v_dual_add_f32 v24, v28, v26
	v_dual_mul_f32 v119, 0xbeb8f4ab, v156 :: v_dual_add_f32 v28, v31, v29
	v_dual_fmamk_f32 v29, v44, 0x3dbcf732, v108 :: v_dual_add_f32 v26, v30, v27
	v_fmamk_f32 v97, v47, 0xbf7ba420, v122
	v_fmamk_f32 v30, v39, 0x3f4c4adb, v105
	v_fma_f32 v27, 0x3f3d2fb0, v40, -v98
	v_fmamk_f32 v31, v36, 0xbf763a35, v102
	v_mul_f32_e32 v109, 0xbf763a35, v157
	v_dual_mul_f32 v120, 0xbf4c4adb, v148 :: v_dual_add_f32 v155, v21, v143
	v_add_f32_e32 v30, v21, v30
	v_add_f32_e32 v26, v27, v26
	v_dual_mul_f32 v129, 0xbf2c7751, v150 :: v_dual_add_f32 v116, v21, v116
	s_delay_alu instid0(VALU_DEP_3) | instskip(SKIP_3) | instid1(VALU_DEP_4)
	v_dual_fmamk_f32 v127, v36, 0xbf06c442, v138 :: v_dual_add_f32 v30, v31, v30
	v_fmamk_f32 v31, v37, 0x3eb8f4ab, v95
	v_add_f32_e32 v27, v29, v28
	v_fmamk_f32 v28, v45, 0xbf1a4643, v110
	v_dual_mul_f32 v139, 0x3f3d2fb0, v121 :: v_dual_add_f32 v116, v127, v116
	v_dual_mul_f32 v114, 0xbeb8f4ab, v151 :: v_dual_mul_f32 v133, 0xbeb8f4ab, v117
	s_delay_alu instid0(VALU_DEP_3) | instskip(NEXT) | instid1(VALU_DEP_3)
	v_dual_add_f32 v27, v28, v27 :: v_dual_fmamk_f32 v28, v46, 0x3f6eb680, v119
	v_fmamk_f32 v127, v37, 0xbf2c7751, v139
	v_mul_f32_e32 v100, 0xbf763a35, v125
	v_mul_f32_e32 v118, 0x3f2c7751, v158
	v_dual_mul_f32 v96, 0xbf06c442, v111 :: v_dual_mul_f32 v115, 0xbf06c442, v154
	v_dual_add_f32 v28, v28, v27 :: v_dual_mul_f32 v101, 0xbf2c7751, v113
	s_delay_alu instid0(VALU_DEP_4) | instskip(SKIP_3) | instid1(VALU_DEP_4)
	v_fma_f32 v29, 0xbe8c1d8e, v42, -v100
	v_mul_f32_e32 v123, 0x3f763a35, v149
	v_fmamk_f32 v131, v47, 0x3f3d2fb0, v129
	v_mul_f32_e32 v136, 0xbf4c4adb, v125
	v_dual_mul_f32 v142, 0xbf7ba420, v124 :: v_dual_add_f32 v27, v29, v26
	v_add_f32_e32 v26, v97, v28
	v_dual_fmamk_f32 v28, v72, 0x3f3d2fb0, v118 :: v_dual_add_f32 v29, v31, v30
	v_fma_f32 v30, 0xbf59a7d5, v34, -v96
	v_mul_f32_e32 v97, 0x3f7ee86f, v112
	s_delay_alu instid0(VALU_DEP_3) | instskip(NEXT) | instid1(VALU_DEP_3)
	v_dual_fmamk_f32 v31, v41, 0xbf1a4643, v120 :: v_dual_add_f32 v26, v28, v26
	v_dual_mul_f32 v141, 0xbe3c28d5, v112 :: v_dual_add_f32 v28, v30, v29
	s_delay_alu instid0(VALU_DEP_3) | instskip(SKIP_1) | instid1(VALU_DEP_4)
	v_fma_f32 v29, 0x3dbcf732, v35, -v97
	v_dual_fmamk_f32 v30, v73, 0xbe8c1d8e, v109 :: v_dual_mul_f32 v143, 0xbe8c1d8e, v121
	v_add_f32_e32 v31, v20, v31
	v_fma_f32 v137, 0xbf1a4643, v42, -v136
	s_delay_alu instid0(VALU_DEP_4) | instskip(SKIP_4) | instid1(VALU_DEP_4)
	v_add_f32_e32 v28, v29, v28
	v_fma_f32 v29, 0x3f3d2fb0, v38, -v101
	v_fmamk_f32 v104, v43, 0xbe8c1d8e, v123
	v_dual_add_f32 v26, v30, v26 :: v_dual_fmamk_f32 v159, v36, 0x3e3c28d5, v142
	v_fmamk_f32 v160, v37, 0xbf763a35, v143
	v_add_f32_e32 v28, v29, v28
	v_fma_f32 v29, 0xbf7ba420, v40, -v103
	v_add_f32_e32 v30, v104, v31
	v_fmamk_f32 v31, v44, 0x3f6eb680, v114
	v_dual_mul_f32 v104, 0x3f65296c, v125 :: v_dual_add_f32 v155, v159, v155
	v_mul_f32_e32 v159, 0xbf7ee86f, v148
	s_delay_alu instid0(VALU_DEP_3) | instskip(NEXT) | instid1(VALU_DEP_3)
	v_dual_add_f32 v28, v29, v28 :: v_dual_add_f32 v29, v31, v30
	v_dual_fmamk_f32 v30, v45, 0xbf59a7d5, v115 :: v_dual_add_f32 v155, v160, v155
	s_delay_alu instid0(VALU_DEP_3) | instskip(SKIP_2) | instid1(VALU_DEP_4)
	v_fmamk_f32 v162, v41, 0x3dbcf732, v159
	v_mul_f32_e32 v160, 0xbe3c28d5, v149
	v_fma_f32 v31, 0x3ee437d1, v42, -v104
	v_dual_add_f32 v29, v30, v29 :: v_dual_mul_f32 v140, 0xbf65296c, v111
	s_delay_alu instid0(VALU_DEP_3) | instskip(SKIP_3) | instid1(VALU_DEP_3)
	v_dual_add_f32 v162, v20, v162 :: v_dual_fmamk_f32 v165, v43, 0xbf7ba420, v160
	v_fmamk_f32 v30, v46, 0x3dbcf732, v126
	v_mul_f32_e32 v146, 0x3f7ee86f, v113
	v_dual_mul_f32 v134, 0x3f2c7751, v151 :: v_dual_add_f32 v5, v19, v5
	v_dual_add_f32 v165, v165, v162 :: v_dual_add_f32 v30, v30, v29
	v_add_f32_e32 v29, v31, v28
	v_dual_mul_f32 v23, 0x3f763a35, v151 :: v_dual_add_f32 v22, v22, v20
	v_mul_f32_e32 v162, 0x3eb8f4ab, v154
	s_delay_alu instid0(VALU_DEP_4) | instskip(SKIP_1) | instid1(VALU_DEP_4)
	v_add_f32_e32 v28, v131, v30
	v_fmamk_f32 v30, v72, 0xbf7ba420, v130
	v_fmamk_f32 v166, v44, 0xbe8c1d8e, v23
	v_dual_add_f32 v4, v4, v22 :: v_dual_mul_f32 v19, 0xbf1a4643, v124
	v_mul_f32_e32 v22, 0x3f4c4adb, v117
	s_delay_alu instid0(VALU_DEP_4)
	v_add_f32_e32 v28, v30, v28
	v_add_f32_e32 v31, v127, v116
	v_fma_f32 v116, 0x3ee437d1, v34, -v140
	v_fmamk_f32 v169, v36, 0x3f4c4adb, v19
	v_dual_mul_f32 v127, 0x3f65296c, v157 :: v_dual_add_f32 v4, v6, v4
	v_fma_f32 v7, 0xbf1a4643, v40, -v22
	s_delay_alu instid0(VALU_DEP_4)
	v_add_f32_e32 v30, v116, v31
	v_fma_f32 v31, 0xbf7ba420, v35, -v141
	v_fmamk_f32 v131, v41, 0xbe8c1d8e, v145
	v_fmamk_f32 v116, v73, 0x3ee437d1, v127
	v_add_f32_e32 v4, v16, v4
	v_fmac_f32_e32 v86, 0xbe3c28d5, v39
	v_add_f32_e32 v30, v31, v30
	v_fma_f32 v31, 0x3dbcf732, v38, -v146
	v_add_f32_e32 v131, v20, v131
	v_add_f32_e32 v28, v116, v28
	v_mul_f32_e32 v116, 0xbf65296c, v154
	v_add_f32_e32 v4, v18, v4
	v_add_f32_e32 v30, v31, v30
	v_fma_f32 v31, 0x3f6eb680, v40, -v133
	v_add_f32_e32 v131, v132, v131
	v_fmamk_f32 v132, v44, 0x3f3d2fb0, v134
	v_dual_add_f32 v86, v21, v86 :: v_dual_fmac_f32 v87, 0x3eb8f4ab, v36
	s_delay_alu instid0(VALU_DEP_4) | instskip(NEXT) | instid1(VALU_DEP_3)
	v_dual_add_f32 v30, v31, v30 :: v_dual_add_f32 v53, v53, v5
	v_dual_add_f32 v31, v132, v131 :: v_dual_fmamk_f32 v132, v45, 0x3ee437d1, v116
	s_delay_alu instid0(VALU_DEP_3) | instskip(SKIP_2) | instid1(VALU_DEP_3)
	v_dual_mul_f32 v131, 0xbe3c28d5, v156 :: v_dual_add_f32 v86, v87, v86
	v_fmac_f32_e32 v77, 0xbe8c1d8e, v40
	v_fmac_f32_e32 v88, 0xbf06c442, v37
	v_dual_add_f32 v144, v132, v31 :: v_dual_fmamk_f32 v153, v46, 0xbf7ba420, v131
	v_mul_f32_e32 v132, 0x3f7ee86f, v150
	v_add_f32_e32 v31, v137, v30
	v_mul_f32_e32 v137, 0xbeb8f4ab, v158
	v_dual_add_f32 v86, v88, v86 :: v_dual_fmac_f32 v91, 0xbf7ee86f, v37
	s_delay_alu instid0(VALU_DEP_4) | instskip(SKIP_1) | instid1(VALU_DEP_4)
	v_dual_add_f32 v30, v153, v144 :: v_dual_fmamk_f32 v153, v47, 0x3dbcf732, v132
	v_mul_f32_e32 v144, 0x3eb8f4ab, v111
	v_fmamk_f32 v163, v72, 0x3f6eb680, v137
	v_fmac_f32_e32 v76, 0x3f3d2fb0, v34
	v_dual_mul_f32 v170, 0xbf1a4643, v121 :: v_dual_fmac_f32 v81, 0xbf1a4643, v35
	v_add_f32_e32 v30, v153, v30
	v_fma_f32 v161, 0x3f6eb680, v34, -v144
	v_mul_f32_e32 v153, 0xbf65296c, v112
	v_dual_mul_f32 v171, 0xbe3c28d5, v111 :: v_dual_add_f32 v76, v76, v86
	v_fmac_f32_e32 v93, 0x3f6eb680, v35
	s_delay_alu instid0(VALU_DEP_4) | instskip(NEXT) | instid1(VALU_DEP_4)
	v_add_f32_e32 v161, v161, v155
	v_fma_f32 v164, 0x3ee437d1, v35, -v153
	v_dual_mul_f32 v155, 0xbf06c442, v113 :: v_dual_add_f32 v30, v163, v30
	v_mul_f32_e32 v163, 0xbf65296c, v156
	s_delay_alu instid0(VALU_DEP_3) | instskip(NEXT) | instid1(VALU_DEP_3)
	v_dual_mul_f32 v175, 0x3f06c442, v112 :: v_dual_add_f32 v164, v164, v161
	v_fma_f32 v167, 0xbf59a7d5, v38, -v155
	v_dual_add_f32 v76, v81, v76 :: v_dual_fmac_f32 v99, 0xbf7ba420, v38
	s_delay_alu instid0(VALU_DEP_4) | instskip(SKIP_1) | instid1(VALU_DEP_4)
	v_fmamk_f32 v16, v46, 0x3ee437d1, v163
	v_fmac_f32_e32 v74, 0x3ee437d1, v38
	v_add_f32_e32 v6, v167, v164
	v_dual_add_f32 v164, v166, v165 :: v_dual_fmamk_f32 v165, v45, 0x3f6eb680, v162
	v_mul_f32_e32 v166, 0xbf06c442, v150
	s_delay_alu instid0(VALU_DEP_3) | instskip(NEXT) | instid1(VALU_DEP_3)
	v_dual_mul_f32 v167, 0x3f2c7751, v125 :: v_dual_add_f32 v6, v7, v6
	v_dual_fmac_f32 v94, 0xbf06c442, v39 :: v_dual_add_f32 v7, v165, v164
	s_delay_alu instid0(VALU_DEP_3) | instskip(SKIP_1) | instid1(VALU_DEP_3)
	v_fmamk_f32 v18, v47, 0xbf59a7d5, v166
	v_dual_mul_f32 v165, 0x3f4c4adb, v158 :: v_dual_add_f32 v74, v74, v76
	v_dual_add_f32 v76, v21, v94 :: v_dual_add_f32 v7, v16, v7
	v_fmac_f32_e32 v90, 0x3f65296c, v36
	v_add_f32_e32 v4, v52, v4
	v_fmac_f32_e32 v92, 0xbf1a4643, v34
	v_mul_f32_e32 v173, 0xbf7ee86f, v149
	v_dual_add_f32 v7, v18, v7 :: v_dual_fmamk_f32 v18, v72, 0xbf1a4643, v165
	v_add_f32_e32 v76, v90, v76
	v_add_f32_e32 v4, v54, v4
	v_fmac_f32_e32 v98, 0x3f3d2fb0, v40
	s_delay_alu instid0(VALU_DEP_4) | instskip(SKIP_4) | instid1(VALU_DEP_4)
	v_dual_fmac_f32 v100, 0xbe8c1d8e, v42 :: v_dual_add_f32 v7, v18, v7
	v_fma_f32 v18, 0x3f3d2fb0, v42, -v167
	v_dual_add_f32 v76, v91, v76 :: v_dual_mul_f32 v161, 0xbf4c4adb, v157
	v_mul_f32_e32 v16, 0xbf7ba420, v121
	v_fmac_f32_e32 v135, 0xbf763a35, v39
	v_dual_add_f32 v5, v18, v6 :: v_dual_add_f32 v6, v55, v53
	s_delay_alu instid0(VALU_DEP_4)
	v_add_f32_e32 v76, v92, v76
	v_mul_f32_e32 v53, 0xbf65296c, v148
	v_mul_f32_e32 v18, 0x3f2c7751, v112
	v_mul_f32_e32 v176, 0x3f763a35, v113
	v_dual_add_f32 v6, v57, v6 :: v_dual_mul_f32 v57, 0xbf4c4adb, v149
	v_dual_mul_f32 v149, 0xbf2c7751, v149 :: v_dual_add_f32 v76, v93, v76
	v_mul_f32_e32 v112, 0xbf763a35, v112
	s_delay_alu instid0(VALU_DEP_3) | instskip(SKIP_3) | instid1(VALU_DEP_4)
	v_add_f32_e32 v6, v59, v6
	v_fma_f32 v59, 0x3f3d2fb0, v35, -v18
	v_fma_f32 v177, 0xbe8c1d8e, v38, -v176
	v_dual_add_f32 v76, v99, v76 :: v_dual_mul_f32 v121, 0x3ee437d1, v121
	v_dual_add_f32 v6, v49, v6 :: v_dual_mul_f32 v49, 0x3f2c7751, v156
	v_mul_f32_e32 v172, 0xbf2c7751, v148
	s_delay_alu instid0(VALU_DEP_3) | instskip(NEXT) | instid1(VALU_DEP_3)
	v_dual_add_f32 v76, v98, v76 :: v_dual_fmamk_f32 v181, v43, 0x3f3d2fb0, v149
	v_add_f32_e32 v6, v51, v6
	v_fmac_f32_e32 v138, 0x3f06c442, v36
	v_mul_f32_e32 v174, 0x3f65296c, v117
	v_fmac_f32_e32 v140, 0x3ee437d1, v34
	v_fmac_f32_e32 v104, 0x3ee437d1, v42
	v_add_f32_e32 v6, v13, v6
	v_fmac_f32_e32 v101, 0x3f3d2fb0, v38
	v_fmac_f32_e32 v146, 0x3dbcf732, v38
	v_fma_f32 v23, 0xbe8c1d8e, v44, -v23
	v_fmac_f32_e32 v136, 0xbf1a4643, v42
	v_add_f32_e32 v6, v15, v6
	v_mul_f32_e32 v164, 0x3ee437d1, v128
	v_fma_f32 v78, 0xbf59a7d5, v44, -v78
	v_fma_f32 v80, 0x3f3d2fb0, v45, -v80
	s_delay_alu instid0(VALU_DEP_4) | instskip(NEXT) | instid1(VALU_DEP_4)
	v_dual_fmac_f32 v102, 0x3f763a35, v36 :: v_dual_add_f32 v1, v1, v6
	v_fmamk_f32 v17, v39, 0x3f65296c, v164
	v_fmac_f32_e32 v96, 0xbf59a7d5, v34
	v_fmac_f32_e32 v152, 0xbf7ee86f, v39
	s_delay_alu instid0(VALU_DEP_4) | instskip(NEXT) | instid1(VALU_DEP_4)
	v_dual_fmac_f32 v142, 0xbe3c28d5, v36 :: v_dual_add_f32 v1, v3, v1
	v_dual_add_f32 v17, v21, v17 :: v_dual_fmac_f32 v22, 0xbf1a4643, v40
	v_fmac_f32_e32 v164, 0xbf65296c, v39
	v_fmac_f32_e32 v79, 0x3dbcf732, v42
	s_delay_alu instid0(VALU_DEP_4)
	v_add_f32_e32 v1, v62, v1
	v_mul_f32_e32 v62, 0xbf06c442, v157
	v_add_f32_e32 v4, v56, v4
	v_mul_f32_e32 v56, 0x3f2c7751, v157
	v_fmac_f32_e32 v105, 0xbf4c4adb, v39
	v_fmac_f32_e32 v139, 0x3f2c7751, v37
	s_delay_alu instid0(VALU_DEP_4) | instskip(NEXT) | instid1(VALU_DEP_4)
	v_dual_fmac_f32 v95, 0xbeb8f4ab, v37 :: v_dual_add_f32 v58, v58, v4
	v_fmamk_f32 v4, v73, 0x3f3d2fb0, v56
	v_fmac_f32_e32 v97, 0x3dbcf732, v35
	v_fmac_f32_e32 v103, 0xbf7ba420, v40
	s_delay_alu instid0(VALU_DEP_4) | instskip(NEXT) | instid1(VALU_DEP_4)
	v_dual_fmac_f32 v141, 0xbf7ba420, v35 :: v_dual_add_f32 v48, v48, v58
	v_dual_add_f32 v4, v4, v7 :: v_dual_fmac_f32 v133, 0x3f6eb680, v40
	v_fmac_f32_e32 v143, 0x3f763a35, v37
	s_delay_alu instid0(VALU_DEP_3) | instskip(SKIP_3) | instid1(VALU_DEP_4)
	v_dual_fmac_f32 v153, 0x3ee437d1, v35 :: v_dual_add_f32 v50, v50, v48
	v_fmamk_f32 v168, v73, 0xbf1a4643, v161
	v_mul_f32_e32 v48, 0xbf7ee86f, v117
	v_dual_mul_f32 v117, 0xbf06c442, v117 :: v_dual_add_f32 v74, v77, v74
	v_add_f32_e32 v13, v12, v50
	v_mul_f32_e32 v12, 0xbeb8f4ab, v150
	v_add_f32_e32 v30, v168, v30
	v_add_f32_e32 v168, v169, v17
	v_fmamk_f32 v169, v37, 0xbe3c28d5, v16
	v_mul_f32_e32 v17, 0x3f763a35, v111
	v_add_f32_e32 v13, v14, v13
	v_fmamk_f32 v50, v46, 0x3f3d2fb0, v49
	v_fma_f32 v14, 0x3dbcf732, v40, -v48
	v_fma_f32 v77, 0xbf59a7d5, v41, -v106
	;; [unrolled: 1-line block ×3, first 2 shown]
	v_dual_add_f32 v0, v0, v13 :: v_dual_mul_f32 v13, 0xbf7ee86f, v158
	v_dual_add_f32 v52, v169, v168 :: v_dual_fmamk_f32 v169, v43, 0xbf1a4643, v57
	s_delay_alu instid0(VALU_DEP_4) | instskip(SKIP_2) | instid1(VALU_DEP_4)
	v_add_f32_e32 v77, v20, v77
	v_fmac_f32_e32 v155, 0xbf59a7d5, v38
	v_fma_f32 v57, 0xbf1a4643, v43, -v57
	v_dual_add_f32 v55, v54, v52 :: v_dual_fmamk_f32 v54, v41, 0x3ee437d1, v53
	v_mul_f32_e32 v52, 0xbeb8f4ab, v113
	v_mul_f32_e32 v113, 0xbf4c4adb, v113
	v_fmac_f32_e32 v167, 0x3f3d2fb0, v42
	s_delay_alu instid0(VALU_DEP_4) | instskip(SKIP_4) | instid1(VALU_DEP_4)
	v_dual_add_f32 v7, v59, v55 :: v_dual_add_f32 v168, v20, v54
	v_mul_f32_e32 v54, 0x3e3c28d5, v151
	v_fma_f32 v59, 0x3f6eb680, v38, -v52
	v_mul_f32_e32 v55, 0x3f763a35, v154
	v_fmac_f32_e32 v19, 0xbf4c4adb, v36
	v_dual_add_f32 v168, v169, v168 :: v_dual_fmamk_f32 v169, v44, 0xbf7ba420, v54
	s_delay_alu instid0(VALU_DEP_4) | instskip(NEXT) | instid1(VALU_DEP_4)
	v_add_f32_e32 v7, v59, v7
	v_fmamk_f32 v59, v45, 0xbe8c1d8e, v55
	s_delay_alu instid0(VALU_DEP_3) | instskip(SKIP_3) | instid1(VALU_DEP_4)
	v_dual_fmac_f32 v17, 0xbe8c1d8e, v34 :: v_dual_add_f32 v58, v169, v168
	v_mul_f32_e32 v168, 0x3f3d2fb0, v128
	v_mul_f32_e32 v169, 0x3dbcf732, v124
	v_dual_add_f32 v7, v14, v7 :: v_dual_fmamk_f32 v14, v41, 0x3f3d2fb0, v172
	v_add_f32_e32 v51, v59, v58
	v_fmamk_f32 v58, v43, 0x3dbcf732, v173
	v_mul_f32_e32 v128, 0x3f6eb680, v128
	v_mul_f32_e32 v124, 0x3f3d2fb0, v124
	s_delay_alu instid0(VALU_DEP_4) | instskip(SKIP_2) | instid1(VALU_DEP_4)
	v_dual_fmac_f32 v144, 0x3f6eb680, v34 :: v_dual_add_f32 v15, v50, v51
	v_fmamk_f32 v51, v47, 0x3f6eb680, v12
	v_fmamk_f32 v50, v39, 0x3f2c7751, v168
	;; [unrolled: 1-line block ×3, first 2 shown]
	v_fmac_f32_e32 v168, 0xbf2c7751, v39
	s_delay_alu instid0(VALU_DEP_4) | instskip(NEXT) | instid1(VALU_DEP_4)
	v_dual_fmac_f32 v124, 0xbf2c7751, v36 :: v_dual_add_f32 v3, v51, v15
	v_add_f32_e32 v6, v21, v50
	v_dual_add_f32 v51, v20, v14 :: v_dual_mul_f32 v14, 0xbf4c4adb, v151
	v_dual_mul_f32 v151, 0xbf65296c, v151 :: v_dual_add_f32 v0, v2, v0
	v_fmamk_f32 v2, v36, 0x3f7ee86f, v169
	v_fmamk_f32 v15, v72, 0x3dbcf732, v13
	v_mul_f32_e32 v50, 0xbf06c442, v125
	v_fmac_f32_e32 v169, 0xbf7ee86f, v36
	v_add_f32_e32 v0, v61, v0
	v_add_f32_e32 v2, v2, v6
	v_dual_fmamk_f32 v6, v37, 0x3f4c4adb, v170 :: v_dual_add_f32 v15, v15, v3
	v_fma_f32 v3, 0xbf59a7d5, v35, -v175
	v_fma_f32 v59, 0xbf59a7d5, v42, -v50
	s_delay_alu instid0(VALU_DEP_3)
	v_dual_fmamk_f32 v61, v73, 0xbf59a7d5, v62 :: v_dual_add_f32 v2, v6, v2
	v_fma_f32 v6, 0xbf7ba420, v34, -v171
	v_fmac_f32_e32 v170, 0xbf4c4adb, v37
	v_fmac_f32_e32 v175, 0xbf59a7d5, v35
	;; [unrolled: 1-line block ×4, first 2 shown]
	v_add_f32_e32 v2, v6, v2
	v_add_f32_e32 v6, v58, v51
	v_fmamk_f32 v58, v44, 0xbf1a4643, v14
	v_mul_f32_e32 v51, 0xbe3c28d5, v154
	v_mul_f32_e32 v154, 0xbf7ee86f, v154
	v_add_f32_e32 v2, v3, v2
	s_delay_alu instid0(VALU_DEP_4) | instskip(NEXT) | instid1(VALU_DEP_4)
	v_dual_add_f32 v3, v59, v7 :: v_dual_add_f32 v6, v58, v6
	v_fmamk_f32 v178, v45, 0xbf7ba420, v51
	s_delay_alu instid0(VALU_DEP_3) | instskip(SKIP_2) | instid1(VALU_DEP_4)
	v_dual_mul_f32 v58, 0x3f06c442, v156 :: v_dual_add_f32 v7, v177, v2
	v_add_f32_e32 v2, v61, v15
	v_fma_f32 v177, 0x3ee437d1, v40, -v174
	v_add_f32_e32 v6, v178, v6
	s_delay_alu instid0(VALU_DEP_4) | instskip(SKIP_3) | instid1(VALU_DEP_4)
	v_fmamk_f32 v178, v46, 0xbf59a7d5, v58
	v_mul_f32_e32 v59, 0x3f763a35, v150
	v_mul_f32_e32 v61, 0x3f65296c, v158
	v_add_f32_e32 v7, v177, v7
	v_dual_mul_f32 v15, 0x3eb8f4ab, v125 :: v_dual_add_f32 v6, v178, v6
	s_delay_alu instid0(VALU_DEP_4) | instskip(SKIP_2) | instid1(VALU_DEP_4)
	v_fmamk_f32 v177, v47, 0xbe8c1d8e, v59
	v_fmamk_f32 v178, v39, 0x3eb8f4ab, v128
	v_mul_f32_e32 v156, 0xbf763a35, v156
	v_fma_f32 v179, 0x3f6eb680, v42, -v15
	v_mul_f32_e32 v150, 0xbf4c4adb, v150
	v_dual_add_f32 v6, v177, v6 :: v_dual_fmamk_f32 v177, v72, 0x3ee437d1, v61
	s_delay_alu instid0(VALU_DEP_3) | instskip(SKIP_2) | instid1(VALU_DEP_4)
	v_dual_add_f32 v178, v21, v178 :: v_dual_add_f32 v7, v179, v7
	v_fmamk_f32 v179, v37, 0x3f65296c, v121
	v_mul_f32_e32 v158, 0xbf06c442, v158
	v_dual_add_f32 v6, v177, v6 :: v_dual_mul_f32 v177, 0xbeb8f4ab, v148
	s_delay_alu instid0(VALU_DEP_4)
	v_add_f32_e32 v178, v180, v178
	v_mul_f32_e32 v148, 0xbf7ee86f, v111
	v_mul_f32_e32 v125, 0xbe3c28d5, v125
	;; [unrolled: 1-line block ×3, first 2 shown]
	v_fmamk_f32 v180, v41, 0x3f6eb680, v177
	v_add_f32_e32 v178, v179, v178
	v_fma_f32 v179, 0x3dbcf732, v34, -v148
	v_fma_f32 v88, 0xbf7ba420, v42, -v125
	s_delay_alu instid0(VALU_DEP_4) | instskip(NEXT) | instid1(VALU_DEP_3)
	v_dual_fmac_f32 v125, 0xbf7ba420, v42 :: v_dual_add_f32 v180, v20, v180
	v_dual_mul_f32 v157, 0xbe3c28d5, v157 :: v_dual_add_f32 v178, v179, v178
	v_fma_f32 v179, 0xbe8c1d8e, v35, -v112
	v_fmac_f32_e32 v112, 0xbe8c1d8e, v35
	s_delay_alu instid0(VALU_DEP_4) | instskip(SKIP_1) | instid1(VALU_DEP_4)
	v_dual_add_f32 v180, v181, v180 :: v_dual_fmamk_f32 v181, v44, 0x3ee437d1, v151
	v_fma_f32 v56, 0x3f3d2fb0, v73, -v56
	v_add_f32_e32 v178, v179, v178
	v_fma_f32 v179, 0xbf1a4643, v38, -v113
	v_fmac_f32_e32 v52, 0x3f6eb680, v38
	v_add_f32_e32 v180, v181, v180
	v_fmamk_f32 v181, v45, 0x3dbcf732, v154
	v_fmac_f32_e32 v171, 0xbf7ba420, v34
	v_dual_add_f32 v178, v179, v178 :: v_dual_fmac_f32 v121, 0xbf65296c, v37
	v_fmac_f32_e32 v113, 0xbf1a4643, v38
	s_delay_alu instid0(VALU_DEP_4) | instskip(SKIP_3) | instid1(VALU_DEP_4)
	v_dual_add_f32 v179, v181, v180 :: v_dual_fmamk_f32 v180, v46, 0xbe8c1d8e, v156
	v_fma_f32 v181, 0xbf59a7d5, v40, -v117
	v_fmac_f32_e32 v117, 0xbf59a7d5, v40
	v_fmac_f32_e32 v15, 0x3f6eb680, v42
	v_dual_add_f32 v179, v180, v179 :: v_dual_fmamk_f32 v180, v47, 0xbf1a4643, v150
	s_delay_alu instid0(VALU_DEP_4) | instskip(NEXT) | instid1(VALU_DEP_2)
	v_add_f32_e32 v178, v181, v178
	v_dual_fmac_f32 v48, 0x3dbcf732, v40 :: v_dual_add_f32 v87, v180, v179
	v_fmamk_f32 v179, v72, 0xbf59a7d5, v158
	s_delay_alu instid0(VALU_DEP_1) | instskip(SKIP_4) | instid1(VALU_DEP_4)
	v_add_f32_e32 v87, v179, v87
	v_fma_f32 v179, 0xbf7ba420, v41, -v84
	v_add_f32_e32 v84, v88, v178
	v_fma_f32 v178, 0x3f6eb680, v43, -v83
	v_fma_f32 v12, 0x3f6eb680, v47, -v12
	v_add_f32_e32 v88, v20, v179
	s_delay_alu instid0(VALU_DEP_1) | instskip(NEXT) | instid1(VALU_DEP_1)
	v_add_f32_e32 v81, v178, v88
	v_add_f32_e32 v78, v78, v81
	v_fma_f32 v81, 0xbf1a4643, v46, -v75
	v_add_f32_e32 v75, v79, v74
	v_fma_f32 v79, 0x3ee437d1, v47, -v82
	v_fma_f32 v82, 0xbe8c1d8e, v43, -v123
	v_add_f32_e32 v78, v80, v78
	v_fma_f32 v80, 0x3ee437d1, v43, -v107
	v_fmac_f32_e32 v50, 0xbf59a7d5, v42
	s_delay_alu instid0(VALU_DEP_3) | instskip(NEXT) | instid1(VALU_DEP_3)
	v_add_f32_e32 v78, v81, v78
	v_add_f32_e32 v74, v80, v77
	v_fma_f32 v77, 0x3dbcf732, v44, -v108
	v_fma_f32 v80, 0xbf7ba420, v47, -v122
	s_delay_alu instid0(VALU_DEP_4) | instskip(SKIP_1) | instid1(VALU_DEP_4)
	v_add_f32_e32 v78, v79, v78
	v_fma_f32 v79, 0xbe8c1d8e, v72, -v85
	v_add_f32_e32 v74, v77, v74
	v_fma_f32 v77, 0xbf1a4643, v45, -v110
	s_delay_alu instid0(VALU_DEP_3) | instskip(SKIP_1) | instid1(VALU_DEP_3)
	v_add_f32_e32 v78, v79, v78
	v_fma_f32 v79, 0x3dbcf732, v73, -v89
	v_add_f32_e32 v74, v77, v74
	v_fma_f32 v77, 0x3f6eb680, v46, -v119
	s_delay_alu instid0(VALU_DEP_1) | instskip(NEXT) | instid1(VALU_DEP_4)
	v_add_f32_e32 v77, v77, v74
	v_add_f32_e32 v74, v79, v78
	v_fma_f32 v79, 0x3f3d2fb0, v72, -v118
	s_delay_alu instid0(VALU_DEP_3) | instskip(SKIP_2) | instid1(VALU_DEP_3)
	v_add_f32_e32 v78, v80, v77
	v_dual_add_f32 v80, v21, v105 :: v_dual_add_f32 v77, v100, v76
	v_fma_f32 v76, 0xbf1a4643, v41, -v120
	v_add_f32_e32 v78, v79, v78
	v_fma_f32 v79, 0xbe8c1d8e, v73, -v109
	s_delay_alu instid0(VALU_DEP_4) | instskip(NEXT) | instid1(VALU_DEP_2)
	v_add_f32_e32 v80, v102, v80
	v_dual_add_f32 v81, v20, v76 :: v_dual_add_f32 v76, v79, v78
	s_delay_alu instid0(VALU_DEP_1) | instskip(SKIP_3) | instid1(VALU_DEP_4)
	v_dual_add_f32 v78, v95, v80 :: v_dual_add_f32 v79, v82, v81
	v_fma_f32 v80, 0x3f6eb680, v44, -v114
	v_add_f32_e32 v81, v21, v135
	v_fma_f32 v82, 0xbf7ba420, v72, -v130
	v_add_f32_e32 v78, v96, v78
	s_delay_alu instid0(VALU_DEP_4) | instskip(SKIP_1) | instid1(VALU_DEP_3)
	v_dual_fmac_f32 v176, 0xbe8c1d8e, v38 :: v_dual_add_f32 v79, v80, v79
	v_fma_f32 v80, 0xbf59a7d5, v45, -v115
	v_dual_add_f32 v81, v138, v81 :: v_dual_add_f32 v78, v97, v78
	v_fmac_f32_e32 v174, 0x3ee437d1, v40
	s_delay_alu instid0(VALU_DEP_3) | instskip(SKIP_1) | instid1(VALU_DEP_4)
	v_dual_fmamk_f32 v86, v73, 0xbf7ba420, v157 :: v_dual_add_f32 v79, v80, v79
	v_fma_f32 v80, 0x3dbcf732, v46, -v126
	v_dual_add_f32 v81, v139, v81 :: v_dual_add_f32 v78, v101, v78
	s_delay_alu instid0(VALU_DEP_3) | instskip(SKIP_1) | instid1(VALU_DEP_4)
	v_add_f32_e32 v83, v86, v87
	v_fma_f32 v86, 0xbf59a7d5, v43, -v147
	v_add_f32_e32 v79, v80, v79
	v_fma_f32 v80, 0x3f3d2fb0, v47, -v129
	v_dual_add_f32 v81, v140, v81 :: v_dual_add_f32 v78, v103, v78
	v_fma_f32 v87, 0xbf7ba420, v43, -v160
	v_fma_f32 v14, 0xbf1a4643, v44, -v14
	s_delay_alu instid0(VALU_DEP_3) | instskip(NEXT) | instid1(VALU_DEP_4)
	v_dual_add_f32 v80, v80, v79 :: v_dual_add_f32 v81, v141, v81
	v_add_f32_e32 v79, v104, v78
	v_fma_f32 v78, 0xbe8c1d8e, v41, -v145
	v_fmac_f32_e32 v128, 0xbeb8f4ab, v39
	s_delay_alu instid0(VALU_DEP_4) | instskip(SKIP_4) | instid1(VALU_DEP_4)
	v_add_f32_e32 v80, v82, v80
	v_fma_f32 v82, 0x3ee437d1, v73, -v127
	v_add_f32_e32 v81, v146, v81
	v_add_f32_e32 v85, v20, v78
	v_fmac_f32_e32 v148, 0x3dbcf732, v34
	v_add_f32_e32 v78, v82, v80
	s_delay_alu instid0(VALU_DEP_4) | instskip(NEXT) | instid1(VALU_DEP_4)
	v_add_f32_e32 v80, v133, v81
	v_add_f32_e32 v82, v86, v85
	;; [unrolled: 1-line block ×3, first 2 shown]
	v_fma_f32 v85, 0x3f3d2fb0, v44, -v134
	s_delay_alu instid0(VALU_DEP_4) | instskip(SKIP_1) | instid1(VALU_DEP_4)
	v_add_f32_e32 v81, v136, v80
	v_fma_f32 v80, 0x3dbcf732, v41, -v159
	v_add_f32_e32 v86, v142, v86
	s_delay_alu instid0(VALU_DEP_4) | instskip(SKIP_1) | instid1(VALU_DEP_4)
	v_add_f32_e32 v82, v85, v82
	v_fma_f32 v85, 0x3ee437d1, v45, -v116
	v_add_f32_e32 v80, v20, v80
	s_delay_alu instid0(VALU_DEP_4) | instskip(NEXT) | instid1(VALU_DEP_3)
	v_add_f32_e32 v86, v143, v86
	v_add_f32_e32 v82, v85, v82
	v_fma_f32 v85, 0xbf7ba420, v46, -v131
	s_delay_alu instid0(VALU_DEP_4) | instskip(NEXT) | instid1(VALU_DEP_4)
	v_add_f32_e32 v80, v87, v80
	v_add_f32_e32 v86, v144, v86
	v_fma_f32 v87, 0xbf59a7d5, v47, -v166
	s_delay_alu instid0(VALU_DEP_4) | instskip(SKIP_4) | instid1(VALU_DEP_4)
	v_add_f32_e32 v82, v85, v82
	v_fma_f32 v85, 0x3dbcf732, v47, -v132
	v_add_f32_e32 v23, v23, v80
	v_fma_f32 v80, 0x3f6eb680, v45, -v162
	v_add_f32_e32 v86, v153, v86
	v_add_f32_e32 v82, v85, v82
	v_fma_f32 v85, 0x3f6eb680, v72, -v137
	s_delay_alu instid0(VALU_DEP_4) | instskip(SKIP_2) | instid1(VALU_DEP_4)
	v_add_f32_e32 v23, v80, v23
	v_fma_f32 v80, 0x3ee437d1, v46, -v163
	v_add_f32_e32 v86, v155, v86
	v_add_f32_e32 v82, v85, v82
	v_fma_f32 v85, 0xbf1a4643, v73, -v161
	s_delay_alu instid0(VALU_DEP_3) | instskip(SKIP_2) | instid1(VALU_DEP_4)
	v_dual_add_f32 v23, v80, v23 :: v_dual_add_f32 v22, v22, v86
	v_fmamk_f32 v182, v73, 0x3f6eb680, v111
	v_add_f32_e32 v86, v21, v164
	v_add_f32_e32 v80, v85, v82
	s_delay_alu instid0(VALU_DEP_4) | instskip(SKIP_4) | instid1(VALU_DEP_3)
	v_add_f32_e32 v82, v87, v23
	v_add_f32_e32 v23, v167, v22
	v_fma_f32 v85, 0xbf1a4643, v72, -v165
	v_fma_f32 v22, 0x3ee437d1, v41, -v53
	v_add_f32_e32 v19, v19, v86
	v_add_f32_e32 v53, v85, v82
	s_delay_alu instid0(VALU_DEP_3) | instskip(NEXT) | instid1(VALU_DEP_3)
	v_add_f32_e32 v82, v20, v22
	v_add_f32_e32 v16, v16, v19
	s_delay_alu instid0(VALU_DEP_2) | instskip(SKIP_4) | instid1(VALU_DEP_4)
	v_dual_add_f32 v22, v56, v53 :: v_dual_add_f32 v19, v57, v82
	v_fma_f32 v53, 0xbf7ba420, v44, -v54
	v_add_f32_e32 v54, v21, v168
	v_add_f32_e32 v6, v182, v6
	;; [unrolled: 1-line block ×4, first 2 shown]
	v_fma_f32 v19, 0xbe8c1d8e, v45, -v55
	s_delay_alu instid0(VALU_DEP_3) | instskip(SKIP_1) | instid1(VALU_DEP_3)
	v_dual_add_f32 v53, v169, v54 :: v_dual_add_f32 v16, v18, v16
	v_fma_f32 v18, 0x3f3d2fb0, v46, -v49
	v_add_f32_e32 v17, v19, v17
	s_delay_alu instid0(VALU_DEP_3) | instskip(NEXT) | instid1(VALU_DEP_1)
	v_dual_add_f32 v19, v170, v53 :: v_dual_add_f32 v16, v52, v16
	v_dual_add_f32 v17, v18, v17 :: v_dual_add_f32 v18, v171, v19
	s_delay_alu instid0(VALU_DEP_2) | instskip(SKIP_1) | instid1(VALU_DEP_3)
	v_add_f32_e32 v16, v48, v16
	v_fma_f32 v19, 0x3dbcf732, v43, -v173
	v_add_f32_e32 v12, v12, v17
	v_fma_f32 v17, 0x3dbcf732, v72, -v13
	s_delay_alu instid0(VALU_DEP_4) | instskip(SKIP_1) | instid1(VALU_DEP_3)
	v_dual_add_f32 v18, v175, v18 :: v_dual_add_f32 v13, v50, v16
	v_fma_f32 v16, 0x3f3d2fb0, v41, -v172
	v_add_f32_e32 v12, v17, v12
	v_fma_f32 v17, 0xbf59a7d5, v73, -v62
	s_delay_alu instid0(VALU_DEP_4) | instskip(NEXT) | instid1(VALU_DEP_4)
	v_add_f32_e32 v18, v176, v18
	v_add_f32_e32 v16, v20, v16
	s_delay_alu instid0(VALU_DEP_2) | instskip(SKIP_1) | instid1(VALU_DEP_3)
	v_dual_add_f32 v12, v17, v12 :: v_dual_add_f32 v17, v174, v18
	v_fma_f32 v18, 0x3f6eb680, v41, -v177
	v_add_f32_e32 v16, v19, v16
	v_add_f32_e32 v19, v21, v128
	v_and_b32_e32 v21, 0xffff, v71
	s_delay_alu instid0(VALU_DEP_4)
	v_dual_add_f32 v15, v15, v17 :: v_dual_add_f32 v18, v20, v18
	v_fma_f32 v20, 0x3f3d2fb0, v43, -v149
	v_add_f32_e32 v14, v14, v16
	v_fma_f32 v16, 0xbf7ba420, v45, -v51
	v_add_f32_e32 v19, v124, v19
	v_lshl_add_u32 v21, v21, 3, v70
	v_add_f32_e32 v18, v20, v18
	v_fma_f32 v20, 0x3ee437d1, v44, -v151
	v_add_f32_e32 v14, v16, v14
	v_fma_f32 v16, 0xbf59a7d5, v46, -v58
	s_delay_alu instid0(VALU_DEP_3) | instskip(SKIP_1) | instid1(VALU_DEP_3)
	v_dual_add_f32 v19, v121, v19 :: v_dual_add_f32 v18, v20, v18
	v_fma_f32 v20, 0x3dbcf732, v45, -v154
	v_add_f32_e32 v14, v16, v14
	v_fma_f32 v16, 0xbe8c1d8e, v47, -v59
	s_delay_alu instid0(VALU_DEP_4) | instskip(NEXT) | instid1(VALU_DEP_4)
	v_add_f32_e32 v19, v148, v19
	v_add_f32_e32 v18, v20, v18
	v_fma_f32 v20, 0xbe8c1d8e, v46, -v156
	s_delay_alu instid0(VALU_DEP_4) | instskip(SKIP_2) | instid1(VALU_DEP_4)
	v_add_f32_e32 v14, v16, v14
	v_fma_f32 v16, 0x3ee437d1, v72, -v61
	v_add_f32_e32 v19, v112, v19
	v_add_f32_e32 v18, v20, v18
	v_fma_f32 v20, 0xbf1a4643, v47, -v150
	s_delay_alu instid0(VALU_DEP_4) | instskip(NEXT) | instid1(VALU_DEP_4)
	v_add_f32_e32 v14, v16, v14
	v_add_f32_e32 v16, v113, v19
	v_fma_f32 v19, 0xbf59a7d5, v72, -v158
	s_delay_alu instid0(VALU_DEP_4) | instskip(SKIP_1) | instid1(VALU_DEP_4)
	v_add_f32_e32 v18, v20, v18
	v_fma_f32 v20, 0x3f6eb680, v73, -v111
	v_add_f32_e32 v16, v117, v16
	s_delay_alu instid0(VALU_DEP_3) | instskip(SKIP_1) | instid1(VALU_DEP_3)
	v_add_f32_e32 v18, v19, v18
	v_fma_f32 v19, 0xbf7ba420, v73, -v157
	v_dual_add_f32 v14, v20, v14 :: v_dual_add_f32 v17, v125, v16
	s_delay_alu instid0(VALU_DEP_2)
	v_add_f32_e32 v16, v19, v18
	ds_store_2addr_b64 v21, v[0:1], v[83:84] offset1:1
	ds_store_2addr_b64 v21, v[6:7], v[2:3] offset0:2 offset1:3
	ds_store_2addr_b64 v21, v[4:5], v[30:31] offset0:4 offset1:5
	;; [unrolled: 1-line block ×7, first 2 shown]
	ds_store_b64 v21, v[16:17] offset:128
.LBB0_13:
	s_wait_alu 0xfffe
	s_or_b32 exec_lo, exec_lo, s6
	global_wb scope:SCOPE_SE
	s_wait_dscnt 0x0
	s_barrier_signal -1
	s_barrier_wait -1
	global_inv scope:SCOPE_SE
	ds_load_2addr_b64 v[0:3], v33 offset1:17
	ds_load_b64 v[4:5], v33 offset:272
	s_wait_dscnt 0x0
	v_dual_mul_f32 v6, v9, v3 :: v_dual_mul_f32 v7, v11, v5
	s_delay_alu instid0(VALU_DEP_1) | instskip(NEXT) | instid1(VALU_DEP_2)
	v_dual_mul_f32 v11, v11, v4 :: v_dual_fmac_f32 v6, v8, v2
	v_fmac_f32_e32 v7, v10, v4
	s_delay_alu instid0(VALU_DEP_1) | instskip(NEXT) | instid1(VALU_DEP_1)
	v_dual_mul_f32 v9, v9, v2 :: v_dual_add_f32 v4, v6, v7
	v_fma_f32 v2, v8, v3, -v9
	s_delay_alu instid0(VALU_DEP_4) | instskip(SKIP_1) | instid1(VALU_DEP_4)
	v_fma_f32 v3, v10, v5, -v11
	v_add_f32_e32 v5, v0, v6
	v_fma_f32 v0, -0.5, v4, v0
	s_delay_alu instid0(VALU_DEP_4) | instskip(NEXT) | instid1(VALU_DEP_4)
	v_add_f32_e32 v10, v1, v2
	v_add_f32_e32 v8, v2, v3
	v_sub_f32_e32 v9, v2, v3
	v_sub_f32_e32 v6, v6, v7
	s_delay_alu instid0(VALU_DEP_4) | instskip(NEXT) | instid1(VALU_DEP_4)
	v_add_f32_e32 v3, v10, v3
	v_fma_f32 v1, -0.5, v8, v1
	s_delay_alu instid0(VALU_DEP_4) | instskip(SKIP_1) | instid1(VALU_DEP_3)
	v_fmamk_f32 v4, v9, 0xbf5db3d7, v0
	v_add_f32_e32 v2, v5, v7
	v_dual_fmac_f32 v0, 0x3f5db3d7, v9 :: v_dual_fmamk_f32 v5, v6, 0x3f5db3d7, v1
	v_fmac_f32_e32 v1, 0xbf5db3d7, v6
	ds_store_2addr_b64 v32, v[2:3], v[4:5] offset1:17
	ds_store_b64 v32, v[0:1] offset:272
	global_wb scope:SCOPE_SE
	s_wait_dscnt 0x0
	s_barrier_signal -1
	s_barrier_wait -1
	global_inv scope:SCOPE_SE
	s_and_b32 exec_lo, exec_lo, vcc_lo
	s_cbranch_execz .LBB0_15
; %bb.14:
	global_load_b64 v[0:1], v64, s[4:5]
	ds_load_b64 v[2:3], v32
	v_mad_co_u64_u32 v[6:7], null, s0, v69, 0
	s_mov_b32 s6, 0x14141414
	s_mov_b32 s7, 0x3f941414
	v_lshl_add_u32 v10, v68, 3, v64
	s_mul_u64 s[8:9], s[0:1], 48
	s_wait_loadcnt_dscnt 0x0
	v_mul_f32_e32 v4, v3, v1
	v_mul_f32_e32 v1, v2, v1
	s_delay_alu instid0(VALU_DEP_2) | instskip(NEXT) | instid1(VALU_DEP_2)
	v_fmac_f32_e32 v4, v2, v0
	v_fma_f32 v2, v0, v3, -v1
	s_delay_alu instid0(VALU_DEP_2) | instskip(NEXT) | instid1(VALU_DEP_2)
	v_cvt_f64_f32_e32 v[0:1], v4
	v_cvt_f64_f32_e32 v[2:3], v2
	v_mad_co_u64_u32 v[4:5], null, s2, v60, 0
	s_wait_alu 0xfffe
	s_delay_alu instid0(VALU_DEP_3) | instskip(NEXT) | instid1(VALU_DEP_3)
	v_mul_f64_e32 v[0:1], s[6:7], v[0:1]
	v_mul_f64_e32 v[2:3], s[6:7], v[2:3]
	s_delay_alu instid0(VALU_DEP_2) | instskip(NEXT) | instid1(VALU_DEP_2)
	v_cvt_f32_f64_e32 v0, v[0:1]
	v_cvt_f32_f64_e32 v1, v[2:3]
	v_dual_mov_b32 v3, v7 :: v_dual_mov_b32 v2, v5
	s_delay_alu instid0(VALU_DEP_1) | instskip(SKIP_2) | instid1(VALU_DEP_2)
	v_mad_co_u64_u32 v[7:8], null, s3, v60, v[2:3]
	v_mad_co_u64_u32 v[2:3], null, s1, v69, v[3:4]
	s_mul_u64 s[2:3], s[0:1], 24
	v_mov_b32_e32 v5, v7
	s_delay_alu instid0(VALU_DEP_2) | instskip(NEXT) | instid1(VALU_DEP_2)
	v_mov_b32_e32 v7, v2
	v_lshlrev_b64_e32 v[2:3], 3, v[4:5]
	s_delay_alu instid0(VALU_DEP_2) | instskip(NEXT) | instid1(VALU_DEP_2)
	v_lshlrev_b64_e32 v[4:5], 3, v[6:7]
	v_add_co_u32 v8, vcc_lo, s12, v2
	s_delay_alu instid0(VALU_DEP_3) | instskip(NEXT) | instid1(VALU_DEP_2)
	v_add_co_ci_u32_e32 v9, vcc_lo, s13, v3, vcc_lo
	v_add_co_u32 v4, vcc_lo, v8, v4
	s_wait_alu 0xfffd
	s_delay_alu instid0(VALU_DEP_2)
	v_add_co_ci_u32_e32 v5, vcc_lo, v9, v5, vcc_lo
	global_store_b64 v[4:5], v[0:1], off
	global_load_b64 v[6:7], v64, s[4:5] offset:24
	ds_load_2addr_b64 v[0:3], v10 offset0:3 offset1:6
	s_wait_alu 0xfffe
	v_add_co_u32 v4, vcc_lo, v4, s2
	s_wait_alu 0xfffd
	v_add_co_ci_u32_e32 v5, vcc_lo, s3, v5, vcc_lo
	s_wait_loadcnt_dscnt 0x0
	v_mul_f32_e32 v11, v1, v7
	v_mul_f32_e32 v7, v0, v7
	s_delay_alu instid0(VALU_DEP_2) | instskip(NEXT) | instid1(VALU_DEP_2)
	v_fmac_f32_e32 v11, v0, v6
	v_fma_f32 v6, v6, v1, -v7
	s_delay_alu instid0(VALU_DEP_2) | instskip(NEXT) | instid1(VALU_DEP_2)
	v_cvt_f64_f32_e32 v[0:1], v11
	v_cvt_f64_f32_e32 v[6:7], v6
	s_delay_alu instid0(VALU_DEP_2) | instskip(NEXT) | instid1(VALU_DEP_2)
	v_mul_f64_e32 v[0:1], s[6:7], v[0:1]
	v_mul_f64_e32 v[6:7], s[6:7], v[6:7]
	s_delay_alu instid0(VALU_DEP_2) | instskip(NEXT) | instid1(VALU_DEP_2)
	v_cvt_f32_f64_e32 v0, v[0:1]
	v_cvt_f32_f64_e32 v1, v[6:7]
	global_store_b64 v[4:5], v[0:1], off
	global_load_b64 v[0:1], v64, s[4:5] offset:48
	v_add_co_u32 v4, vcc_lo, v4, s2
	s_wait_alu 0xfffd
	v_add_co_ci_u32_e32 v5, vcc_lo, s3, v5, vcc_lo
	s_wait_loadcnt 0x0
	v_mul_f32_e32 v6, v3, v1
	v_mul_f32_e32 v1, v2, v1
	s_delay_alu instid0(VALU_DEP_2) | instskip(NEXT) | instid1(VALU_DEP_2)
	v_fmac_f32_e32 v6, v2, v0
	v_fma_f32 v2, v0, v3, -v1
	s_delay_alu instid0(VALU_DEP_2) | instskip(NEXT) | instid1(VALU_DEP_2)
	v_cvt_f64_f32_e32 v[0:1], v6
	v_cvt_f64_f32_e32 v[2:3], v2
	s_delay_alu instid0(VALU_DEP_2) | instskip(NEXT) | instid1(VALU_DEP_2)
	v_mul_f64_e32 v[0:1], s[6:7], v[0:1]
	v_mul_f64_e32 v[2:3], s[6:7], v[2:3]
	s_delay_alu instid0(VALU_DEP_2) | instskip(NEXT) | instid1(VALU_DEP_2)
	v_cvt_f32_f64_e32 v0, v[0:1]
	v_cvt_f32_f64_e32 v1, v[2:3]
	global_store_b64 v[4:5], v[0:1], off
	global_load_b64 v[6:7], v64, s[4:5] offset:72
	ds_load_2addr_b64 v[0:3], v10 offset0:9 offset1:12
	v_add_co_u32 v4, vcc_lo, v4, s2
	s_wait_alu 0xfffd
	v_add_co_ci_u32_e32 v5, vcc_lo, s3, v5, vcc_lo
	s_wait_loadcnt_dscnt 0x0
	v_mul_f32_e32 v11, v1, v7
	v_mul_f32_e32 v7, v0, v7
	s_delay_alu instid0(VALU_DEP_2) | instskip(NEXT) | instid1(VALU_DEP_2)
	v_fmac_f32_e32 v11, v0, v6
	v_fma_f32 v6, v6, v1, -v7
	s_delay_alu instid0(VALU_DEP_2) | instskip(NEXT) | instid1(VALU_DEP_2)
	v_cvt_f64_f32_e32 v[0:1], v11
	v_cvt_f64_f32_e32 v[6:7], v6
	s_delay_alu instid0(VALU_DEP_2) | instskip(NEXT) | instid1(VALU_DEP_2)
	v_mul_f64_e32 v[0:1], s[6:7], v[0:1]
	v_mul_f64_e32 v[6:7], s[6:7], v[6:7]
	s_delay_alu instid0(VALU_DEP_2) | instskip(NEXT) | instid1(VALU_DEP_2)
	v_cvt_f32_f64_e32 v0, v[0:1]
	v_cvt_f32_f64_e32 v1, v[6:7]
	global_store_b64 v[4:5], v[0:1], off
	global_load_b64 v[0:1], v64, s[4:5] offset:96
	s_wait_loadcnt 0x0
	v_mul_f32_e32 v6, v3, v1
	v_mul_f32_e32 v1, v2, v1
	s_delay_alu instid0(VALU_DEP_2) | instskip(NEXT) | instid1(VALU_DEP_2)
	v_fmac_f32_e32 v6, v2, v0
	v_fma_f32 v2, v0, v3, -v1
	s_delay_alu instid0(VALU_DEP_2) | instskip(NEXT) | instid1(VALU_DEP_2)
	v_cvt_f64_f32_e32 v[0:1], v6
	v_cvt_f64_f32_e32 v[2:3], v2
	v_mad_co_u64_u32 v[6:7], null, s0, v67, 0
	s_delay_alu instid0(VALU_DEP_3) | instskip(NEXT) | instid1(VALU_DEP_3)
	v_mul_f64_e32 v[0:1], s[6:7], v[0:1]
	v_mul_f64_e32 v[2:3], s[6:7], v[2:3]
	s_delay_alu instid0(VALU_DEP_2) | instskip(NEXT) | instid1(VALU_DEP_2)
	v_cvt_f32_f64_e32 v0, v[0:1]
	v_cvt_f32_f64_e32 v1, v[2:3]
	v_mov_b32_e32 v2, v7
	s_delay_alu instid0(VALU_DEP_1) | instskip(NEXT) | instid1(VALU_DEP_1)
	v_mad_co_u64_u32 v[2:3], null, s1, v67, v[2:3]
	v_mov_b32_e32 v7, v2
	s_delay_alu instid0(VALU_DEP_1) | instskip(NEXT) | instid1(VALU_DEP_1)
	v_lshlrev_b64_e32 v[2:3], 3, v[6:7]
	v_add_co_u32 v2, vcc_lo, v8, v2
	s_wait_alu 0xfffd
	s_delay_alu instid0(VALU_DEP_2)
	v_add_co_ci_u32_e32 v3, vcc_lo, v9, v3, vcc_lo
	v_add_co_u32 v4, vcc_lo, v4, s8
	s_wait_alu 0xfffd
	v_add_co_ci_u32_e32 v5, vcc_lo, s9, v5, vcc_lo
	global_store_b64 v[2:3], v[0:1], off
	global_load_b64 v[6:7], v64, s[4:5] offset:120
	ds_load_2addr_b64 v[0:3], v10 offset0:15 offset1:18
	s_wait_loadcnt_dscnt 0x0
	v_mul_f32_e32 v11, v1, v7
	v_mul_f32_e32 v7, v0, v7
	s_delay_alu instid0(VALU_DEP_2) | instskip(NEXT) | instid1(VALU_DEP_2)
	v_fmac_f32_e32 v11, v0, v6
	v_fma_f32 v6, v6, v1, -v7
	s_delay_alu instid0(VALU_DEP_2) | instskip(NEXT) | instid1(VALU_DEP_2)
	v_cvt_f64_f32_e32 v[0:1], v11
	v_cvt_f64_f32_e32 v[6:7], v6
	s_delay_alu instid0(VALU_DEP_2) | instskip(NEXT) | instid1(VALU_DEP_2)
	v_mul_f64_e32 v[0:1], s[6:7], v[0:1]
	v_mul_f64_e32 v[6:7], s[6:7], v[6:7]
	s_delay_alu instid0(VALU_DEP_2) | instskip(NEXT) | instid1(VALU_DEP_2)
	v_cvt_f32_f64_e32 v0, v[0:1]
	v_cvt_f32_f64_e32 v1, v[6:7]
	global_store_b64 v[4:5], v[0:1], off
	global_load_b64 v[0:1], v64, s[4:5] offset:144
	v_add_co_u32 v4, vcc_lo, v4, s2
	s_wait_alu 0xfffd
	v_add_co_ci_u32_e32 v5, vcc_lo, s3, v5, vcc_lo
	s_wait_loadcnt 0x0
	v_mul_f32_e32 v6, v3, v1
	v_mul_f32_e32 v1, v2, v1
	s_delay_alu instid0(VALU_DEP_2) | instskip(NEXT) | instid1(VALU_DEP_2)
	v_fmac_f32_e32 v6, v2, v0
	v_fma_f32 v2, v0, v3, -v1
	s_delay_alu instid0(VALU_DEP_2) | instskip(NEXT) | instid1(VALU_DEP_2)
	v_cvt_f64_f32_e32 v[0:1], v6
	v_cvt_f64_f32_e32 v[2:3], v2
	s_delay_alu instid0(VALU_DEP_2) | instskip(NEXT) | instid1(VALU_DEP_2)
	v_mul_f64_e32 v[0:1], s[6:7], v[0:1]
	v_mul_f64_e32 v[2:3], s[6:7], v[2:3]
	s_delay_alu instid0(VALU_DEP_2) | instskip(NEXT) | instid1(VALU_DEP_2)
	v_cvt_f32_f64_e32 v0, v[0:1]
	v_cvt_f32_f64_e32 v1, v[2:3]
	global_store_b64 v[4:5], v[0:1], off
	global_load_b64 v[6:7], v64, s[4:5] offset:168
	ds_load_2addr_b64 v[0:3], v10 offset0:21 offset1:24
	v_add_co_u32 v4, vcc_lo, v4, s2
	s_wait_alu 0xfffd
	v_add_co_ci_u32_e32 v5, vcc_lo, s3, v5, vcc_lo
	s_wait_loadcnt_dscnt 0x0
	v_mul_f32_e32 v11, v1, v7
	v_mul_f32_e32 v7, v0, v7
	s_delay_alu instid0(VALU_DEP_2) | instskip(NEXT) | instid1(VALU_DEP_2)
	v_fmac_f32_e32 v11, v0, v6
	v_fma_f32 v6, v6, v1, -v7
	s_delay_alu instid0(VALU_DEP_2) | instskip(NEXT) | instid1(VALU_DEP_2)
	v_cvt_f64_f32_e32 v[0:1], v11
	v_cvt_f64_f32_e32 v[6:7], v6
	s_delay_alu instid0(VALU_DEP_2) | instskip(NEXT) | instid1(VALU_DEP_2)
	v_mul_f64_e32 v[0:1], s[6:7], v[0:1]
	v_mul_f64_e32 v[6:7], s[6:7], v[6:7]
	s_delay_alu instid0(VALU_DEP_2) | instskip(NEXT) | instid1(VALU_DEP_2)
	v_cvt_f32_f64_e32 v0, v[0:1]
	v_cvt_f32_f64_e32 v1, v[6:7]
	global_store_b64 v[4:5], v[0:1], off
	global_load_b64 v[0:1], v64, s[4:5] offset:192
	s_wait_loadcnt 0x0
	v_mul_f32_e32 v6, v3, v1
	v_mul_f32_e32 v1, v2, v1
	s_delay_alu instid0(VALU_DEP_2) | instskip(NEXT) | instid1(VALU_DEP_2)
	v_fmac_f32_e32 v6, v2, v0
	v_fma_f32 v2, v0, v3, -v1
	s_delay_alu instid0(VALU_DEP_2) | instskip(NEXT) | instid1(VALU_DEP_2)
	v_cvt_f64_f32_e32 v[0:1], v6
	v_cvt_f64_f32_e32 v[2:3], v2
	v_mad_co_u64_u32 v[6:7], null, s0, v66, 0
	s_delay_alu instid0(VALU_DEP_3) | instskip(NEXT) | instid1(VALU_DEP_3)
	v_mul_f64_e32 v[0:1], s[6:7], v[0:1]
	v_mul_f64_e32 v[2:3], s[6:7], v[2:3]
	s_delay_alu instid0(VALU_DEP_2) | instskip(NEXT) | instid1(VALU_DEP_2)
	v_cvt_f32_f64_e32 v0, v[0:1]
	v_cvt_f32_f64_e32 v1, v[2:3]
	v_mov_b32_e32 v2, v7
	s_delay_alu instid0(VALU_DEP_1) | instskip(NEXT) | instid1(VALU_DEP_1)
	v_mad_co_u64_u32 v[2:3], null, s1, v66, v[2:3]
	v_mov_b32_e32 v7, v2
	s_delay_alu instid0(VALU_DEP_1) | instskip(NEXT) | instid1(VALU_DEP_1)
	v_lshlrev_b64_e32 v[2:3], 3, v[6:7]
	v_add_co_u32 v2, vcc_lo, v8, v2
	s_wait_alu 0xfffd
	s_delay_alu instid0(VALU_DEP_2)
	v_add_co_ci_u32_e32 v3, vcc_lo, v9, v3, vcc_lo
	v_add_co_u32 v4, vcc_lo, v4, s8
	s_wait_alu 0xfffd
	v_add_co_ci_u32_e32 v5, vcc_lo, s9, v5, vcc_lo
	global_store_b64 v[2:3], v[0:1], off
	global_load_b64 v[6:7], v64, s[4:5] offset:216
	ds_load_2addr_b64 v[0:3], v10 offset0:27 offset1:30
	s_wait_loadcnt_dscnt 0x0
	v_mul_f32_e32 v11, v1, v7
	v_mul_f32_e32 v7, v0, v7
	s_delay_alu instid0(VALU_DEP_2) | instskip(NEXT) | instid1(VALU_DEP_2)
	v_fmac_f32_e32 v11, v0, v6
	v_fma_f32 v6, v6, v1, -v7
	s_delay_alu instid0(VALU_DEP_2) | instskip(NEXT) | instid1(VALU_DEP_2)
	v_cvt_f64_f32_e32 v[0:1], v11
	v_cvt_f64_f32_e32 v[6:7], v6
	s_delay_alu instid0(VALU_DEP_2) | instskip(NEXT) | instid1(VALU_DEP_2)
	v_mul_f64_e32 v[0:1], s[6:7], v[0:1]
	v_mul_f64_e32 v[6:7], s[6:7], v[6:7]
	s_delay_alu instid0(VALU_DEP_2) | instskip(NEXT) | instid1(VALU_DEP_2)
	v_cvt_f32_f64_e32 v0, v[0:1]
	v_cvt_f32_f64_e32 v1, v[6:7]
	global_store_b64 v[4:5], v[0:1], off
	global_load_b64 v[0:1], v64, s[4:5] offset:240
	v_add_co_u32 v4, vcc_lo, v4, s2
	s_wait_alu 0xfffd
	v_add_co_ci_u32_e32 v5, vcc_lo, s3, v5, vcc_lo
	s_wait_loadcnt 0x0
	v_mul_f32_e32 v6, v3, v1
	v_mul_f32_e32 v1, v2, v1
	s_delay_alu instid0(VALU_DEP_2) | instskip(NEXT) | instid1(VALU_DEP_2)
	v_fmac_f32_e32 v6, v2, v0
	v_fma_f32 v2, v0, v3, -v1
	s_delay_alu instid0(VALU_DEP_2) | instskip(NEXT) | instid1(VALU_DEP_2)
	v_cvt_f64_f32_e32 v[0:1], v6
	v_cvt_f64_f32_e32 v[2:3], v2
	s_delay_alu instid0(VALU_DEP_2) | instskip(NEXT) | instid1(VALU_DEP_2)
	v_mul_f64_e32 v[0:1], s[6:7], v[0:1]
	v_mul_f64_e32 v[2:3], s[6:7], v[2:3]
	s_delay_alu instid0(VALU_DEP_2) | instskip(NEXT) | instid1(VALU_DEP_2)
	v_cvt_f32_f64_e32 v0, v[0:1]
	v_cvt_f32_f64_e32 v1, v[2:3]
	global_store_b64 v[4:5], v[0:1], off
	global_load_b64 v[6:7], v64, s[4:5] offset:264
	ds_load_2addr_b64 v[0:3], v10 offset0:33 offset1:36
	v_add_co_u32 v4, vcc_lo, v4, s2
	s_wait_alu 0xfffd
	v_add_co_ci_u32_e32 v5, vcc_lo, s3, v5, vcc_lo
	s_wait_loadcnt_dscnt 0x0
	v_mul_f32_e32 v11, v1, v7
	v_mul_f32_e32 v7, v0, v7
	s_delay_alu instid0(VALU_DEP_2) | instskip(NEXT) | instid1(VALU_DEP_2)
	v_fmac_f32_e32 v11, v0, v6
	v_fma_f32 v6, v6, v1, -v7
	s_delay_alu instid0(VALU_DEP_2) | instskip(NEXT) | instid1(VALU_DEP_2)
	v_cvt_f64_f32_e32 v[0:1], v11
	v_cvt_f64_f32_e32 v[6:7], v6
	s_delay_alu instid0(VALU_DEP_2) | instskip(NEXT) | instid1(VALU_DEP_2)
	v_mul_f64_e32 v[0:1], s[6:7], v[0:1]
	v_mul_f64_e32 v[6:7], s[6:7], v[6:7]
	s_delay_alu instid0(VALU_DEP_2) | instskip(NEXT) | instid1(VALU_DEP_2)
	v_cvt_f32_f64_e32 v0, v[0:1]
	v_cvt_f32_f64_e32 v1, v[6:7]
	global_store_b64 v[4:5], v[0:1], off
	global_load_b64 v[0:1], v64, s[4:5] offset:288
	s_wait_loadcnt 0x0
	v_mul_f32_e32 v6, v3, v1
	v_mul_f32_e32 v1, v2, v1
	s_delay_alu instid0(VALU_DEP_2) | instskip(NEXT) | instid1(VALU_DEP_2)
	v_fmac_f32_e32 v6, v2, v0
	v_fma_f32 v2, v0, v3, -v1
	s_delay_alu instid0(VALU_DEP_2) | instskip(NEXT) | instid1(VALU_DEP_2)
	v_cvt_f64_f32_e32 v[0:1], v6
	v_cvt_f64_f32_e32 v[2:3], v2
	v_mad_co_u64_u32 v[6:7], null, s0, v65, 0
	s_delay_alu instid0(VALU_DEP_3) | instskip(NEXT) | instid1(VALU_DEP_3)
	v_mul_f64_e32 v[0:1], s[6:7], v[0:1]
	v_mul_f64_e32 v[2:3], s[6:7], v[2:3]
	s_delay_alu instid0(VALU_DEP_2) | instskip(NEXT) | instid1(VALU_DEP_2)
	v_cvt_f32_f64_e32 v0, v[0:1]
	v_cvt_f32_f64_e32 v1, v[2:3]
	v_mov_b32_e32 v2, v7
	s_delay_alu instid0(VALU_DEP_1) | instskip(NEXT) | instid1(VALU_DEP_1)
	v_mad_co_u64_u32 v[2:3], null, s1, v65, v[2:3]
	v_mov_b32_e32 v7, v2
	s_delay_alu instid0(VALU_DEP_1) | instskip(NEXT) | instid1(VALU_DEP_1)
	v_lshlrev_b64_e32 v[2:3], 3, v[6:7]
	v_add_co_u32 v2, vcc_lo, v8, v2
	s_wait_alu 0xfffd
	s_delay_alu instid0(VALU_DEP_2)
	v_add_co_ci_u32_e32 v3, vcc_lo, v9, v3, vcc_lo
	v_add_co_u32 v4, vcc_lo, v4, s8
	s_wait_alu 0xfffd
	v_add_co_ci_u32_e32 v5, vcc_lo, s9, v5, vcc_lo
	global_store_b64 v[2:3], v[0:1], off
	global_load_b64 v[6:7], v64, s[4:5] offset:312
	ds_load_2addr_b64 v[0:3], v10 offset0:39 offset1:42
	s_wait_loadcnt_dscnt 0x0
	v_mul_f32_e32 v11, v1, v7
	v_mul_f32_e32 v7, v0, v7
	s_delay_alu instid0(VALU_DEP_2) | instskip(NEXT) | instid1(VALU_DEP_2)
	v_fmac_f32_e32 v11, v0, v6
	v_fma_f32 v6, v6, v1, -v7
	s_delay_alu instid0(VALU_DEP_2) | instskip(NEXT) | instid1(VALU_DEP_2)
	v_cvt_f64_f32_e32 v[0:1], v11
	v_cvt_f64_f32_e32 v[6:7], v6
	s_delay_alu instid0(VALU_DEP_2) | instskip(NEXT) | instid1(VALU_DEP_2)
	v_mul_f64_e32 v[0:1], s[6:7], v[0:1]
	v_mul_f64_e32 v[6:7], s[6:7], v[6:7]
	s_delay_alu instid0(VALU_DEP_2) | instskip(NEXT) | instid1(VALU_DEP_2)
	v_cvt_f32_f64_e32 v0, v[0:1]
	v_cvt_f32_f64_e32 v1, v[6:7]
	global_store_b64 v[4:5], v[0:1], off
	global_load_b64 v[0:1], v64, s[4:5] offset:336
	v_add_co_u32 v4, vcc_lo, v4, s2
	s_wait_alu 0xfffd
	v_add_co_ci_u32_e32 v5, vcc_lo, s3, v5, vcc_lo
	s_wait_loadcnt 0x0
	v_mul_f32_e32 v6, v3, v1
	v_mul_f32_e32 v1, v2, v1
	s_delay_alu instid0(VALU_DEP_2) | instskip(NEXT) | instid1(VALU_DEP_2)
	v_fmac_f32_e32 v6, v2, v0
	v_fma_f32 v2, v0, v3, -v1
	s_delay_alu instid0(VALU_DEP_2) | instskip(NEXT) | instid1(VALU_DEP_2)
	v_cvt_f64_f32_e32 v[0:1], v6
	v_cvt_f64_f32_e32 v[2:3], v2
	s_delay_alu instid0(VALU_DEP_2) | instskip(NEXT) | instid1(VALU_DEP_2)
	v_mul_f64_e32 v[0:1], s[6:7], v[0:1]
	v_mul_f64_e32 v[2:3], s[6:7], v[2:3]
	s_delay_alu instid0(VALU_DEP_2) | instskip(NEXT) | instid1(VALU_DEP_2)
	v_cvt_f32_f64_e32 v0, v[0:1]
	v_cvt_f32_f64_e32 v1, v[2:3]
	global_store_b64 v[4:5], v[0:1], off
	global_load_b64 v[6:7], v64, s[4:5] offset:360
	ds_load_2addr_b64 v[0:3], v10 offset0:45 offset1:48
	v_add_co_u32 v4, vcc_lo, v4, s2
	s_wait_alu 0xfffd
	v_add_co_ci_u32_e32 v5, vcc_lo, s3, v5, vcc_lo
	s_wait_loadcnt_dscnt 0x0
	v_mul_f32_e32 v10, v1, v7
	v_mul_f32_e32 v7, v0, v7
	s_delay_alu instid0(VALU_DEP_2) | instskip(NEXT) | instid1(VALU_DEP_2)
	v_fmac_f32_e32 v10, v0, v6
	v_fma_f32 v6, v6, v1, -v7
	s_delay_alu instid0(VALU_DEP_2) | instskip(NEXT) | instid1(VALU_DEP_2)
	v_cvt_f64_f32_e32 v[0:1], v10
	v_cvt_f64_f32_e32 v[6:7], v6
	s_delay_alu instid0(VALU_DEP_2) | instskip(NEXT) | instid1(VALU_DEP_2)
	v_mul_f64_e32 v[0:1], s[6:7], v[0:1]
	v_mul_f64_e32 v[6:7], s[6:7], v[6:7]
	s_delay_alu instid0(VALU_DEP_2) | instskip(NEXT) | instid1(VALU_DEP_2)
	v_cvt_f32_f64_e32 v0, v[0:1]
	v_cvt_f32_f64_e32 v1, v[6:7]
	global_store_b64 v[4:5], v[0:1], off
	global_load_b64 v[0:1], v64, s[4:5] offset:384
	s_wait_loadcnt 0x0
	v_mul_f32_e32 v4, v3, v1
	v_mul_f32_e32 v1, v2, v1
	s_delay_alu instid0(VALU_DEP_2) | instskip(NEXT) | instid1(VALU_DEP_2)
	v_fmac_f32_e32 v4, v2, v0
	v_fma_f32 v2, v0, v3, -v1
	s_delay_alu instid0(VALU_DEP_2) | instskip(NEXT) | instid1(VALU_DEP_2)
	v_cvt_f64_f32_e32 v[0:1], v4
	v_cvt_f64_f32_e32 v[2:3], v2
	v_mad_co_u64_u32 v[4:5], null, s0, v63, 0
	s_delay_alu instid0(VALU_DEP_3) | instskip(NEXT) | instid1(VALU_DEP_3)
	v_mul_f64_e32 v[0:1], s[6:7], v[0:1]
	v_mul_f64_e32 v[2:3], s[6:7], v[2:3]
	s_delay_alu instid0(VALU_DEP_2) | instskip(NEXT) | instid1(VALU_DEP_2)
	v_cvt_f32_f64_e32 v0, v[0:1]
	v_cvt_f32_f64_e32 v1, v[2:3]
	v_mov_b32_e32 v2, v5
	s_delay_alu instid0(VALU_DEP_1) | instskip(NEXT) | instid1(VALU_DEP_1)
	v_mad_co_u64_u32 v[2:3], null, s1, v63, v[2:3]
	v_mov_b32_e32 v5, v2
	s_delay_alu instid0(VALU_DEP_1) | instskip(NEXT) | instid1(VALU_DEP_1)
	v_lshlrev_b64_e32 v[2:3], 3, v[4:5]
	v_add_co_u32 v2, vcc_lo, v8, v2
	s_wait_alu 0xfffd
	s_delay_alu instid0(VALU_DEP_2)
	v_add_co_ci_u32_e32 v3, vcc_lo, v9, v3, vcc_lo
	global_store_b64 v[2:3], v[0:1], off
.LBB0_15:
	s_nop 0
	s_sendmsg sendmsg(MSG_DEALLOC_VGPRS)
	s_endpgm
	.section	.rodata,"a",@progbits
	.p2align	6, 0x0
	.amdhsa_kernel bluestein_single_fwd_len51_dim1_sp_op_CI_CI
		.amdhsa_group_segment_fixed_size 6120
		.amdhsa_private_segment_fixed_size 0
		.amdhsa_kernarg_size 104
		.amdhsa_user_sgpr_count 2
		.amdhsa_user_sgpr_dispatch_ptr 0
		.amdhsa_user_sgpr_queue_ptr 0
		.amdhsa_user_sgpr_kernarg_segment_ptr 1
		.amdhsa_user_sgpr_dispatch_id 0
		.amdhsa_user_sgpr_private_segment_size 0
		.amdhsa_wavefront_size32 1
		.amdhsa_uses_dynamic_stack 0
		.amdhsa_enable_private_segment 0
		.amdhsa_system_sgpr_workgroup_id_x 1
		.amdhsa_system_sgpr_workgroup_id_y 0
		.amdhsa_system_sgpr_workgroup_id_z 0
		.amdhsa_system_sgpr_workgroup_info 0
		.amdhsa_system_vgpr_workitem_id 0
		.amdhsa_next_free_vgpr 183
		.amdhsa_next_free_sgpr 14
		.amdhsa_reserve_vcc 1
		.amdhsa_float_round_mode_32 0
		.amdhsa_float_round_mode_16_64 0
		.amdhsa_float_denorm_mode_32 3
		.amdhsa_float_denorm_mode_16_64 3
		.amdhsa_fp16_overflow 0
		.amdhsa_workgroup_processor_mode 1
		.amdhsa_memory_ordered 1
		.amdhsa_forward_progress 0
		.amdhsa_round_robin_scheduling 0
		.amdhsa_exception_fp_ieee_invalid_op 0
		.amdhsa_exception_fp_denorm_src 0
		.amdhsa_exception_fp_ieee_div_zero 0
		.amdhsa_exception_fp_ieee_overflow 0
		.amdhsa_exception_fp_ieee_underflow 0
		.amdhsa_exception_fp_ieee_inexact 0
		.amdhsa_exception_int_div_zero 0
	.end_amdhsa_kernel
	.text
.Lfunc_end0:
	.size	bluestein_single_fwd_len51_dim1_sp_op_CI_CI, .Lfunc_end0-bluestein_single_fwd_len51_dim1_sp_op_CI_CI
                                        ; -- End function
	.section	.AMDGPU.csdata,"",@progbits
; Kernel info:
; codeLenInByte = 16104
; NumSgprs: 16
; NumVgprs: 183
; ScratchSize: 0
; MemoryBound: 0
; FloatMode: 240
; IeeeMode: 1
; LDSByteSize: 6120 bytes/workgroup (compile time only)
; SGPRBlocks: 1
; VGPRBlocks: 22
; NumSGPRsForWavesPerEU: 16
; NumVGPRsForWavesPerEU: 183
; Occupancy: 8
; WaveLimiterHint : 1
; COMPUTE_PGM_RSRC2:SCRATCH_EN: 0
; COMPUTE_PGM_RSRC2:USER_SGPR: 2
; COMPUTE_PGM_RSRC2:TRAP_HANDLER: 0
; COMPUTE_PGM_RSRC2:TGID_X_EN: 1
; COMPUTE_PGM_RSRC2:TGID_Y_EN: 0
; COMPUTE_PGM_RSRC2:TGID_Z_EN: 0
; COMPUTE_PGM_RSRC2:TIDIG_COMP_CNT: 0
	.text
	.p2alignl 7, 3214868480
	.fill 96, 4, 3214868480
	.type	__hip_cuid_dab4b021d82bb7e0,@object ; @__hip_cuid_dab4b021d82bb7e0
	.section	.bss,"aw",@nobits
	.globl	__hip_cuid_dab4b021d82bb7e0
__hip_cuid_dab4b021d82bb7e0:
	.byte	0                               ; 0x0
	.size	__hip_cuid_dab4b021d82bb7e0, 1

	.ident	"AMD clang version 19.0.0git (https://github.com/RadeonOpenCompute/llvm-project roc-6.4.0 25133 c7fe45cf4b819c5991fe208aaa96edf142730f1d)"
	.section	".note.GNU-stack","",@progbits
	.addrsig
	.addrsig_sym __hip_cuid_dab4b021d82bb7e0
	.amdgpu_metadata
---
amdhsa.kernels:
  - .args:
      - .actual_access:  read_only
        .address_space:  global
        .offset:         0
        .size:           8
        .value_kind:     global_buffer
      - .actual_access:  read_only
        .address_space:  global
        .offset:         8
        .size:           8
        .value_kind:     global_buffer
      - .actual_access:  read_only
        .address_space:  global
        .offset:         16
        .size:           8
        .value_kind:     global_buffer
      - .actual_access:  read_only
        .address_space:  global
        .offset:         24
        .size:           8
        .value_kind:     global_buffer
      - .actual_access:  read_only
        .address_space:  global
        .offset:         32
        .size:           8
        .value_kind:     global_buffer
      - .offset:         40
        .size:           8
        .value_kind:     by_value
      - .address_space:  global
        .offset:         48
        .size:           8
        .value_kind:     global_buffer
      - .address_space:  global
        .offset:         56
        .size:           8
        .value_kind:     global_buffer
      - .address_space:  global
        .offset:         64
        .size:           8
        .value_kind:     global_buffer
      - .address_space:  global
        .offset:         72
        .size:           8
        .value_kind:     global_buffer
      - .offset:         80
        .size:           4
        .value_kind:     by_value
      - .address_space:  global
        .offset:         88
        .size:           8
        .value_kind:     global_buffer
      - .address_space:  global
        .offset:         96
        .size:           8
        .value_kind:     global_buffer
    .group_segment_fixed_size: 6120
    .kernarg_segment_align: 8
    .kernarg_segment_size: 104
    .language:       OpenCL C
    .language_version:
      - 2
      - 0
    .max_flat_workgroup_size: 255
    .name:           bluestein_single_fwd_len51_dim1_sp_op_CI_CI
    .private_segment_fixed_size: 0
    .sgpr_count:     16
    .sgpr_spill_count: 0
    .symbol:         bluestein_single_fwd_len51_dim1_sp_op_CI_CI.kd
    .uniform_work_group_size: 1
    .uses_dynamic_stack: false
    .vgpr_count:     183
    .vgpr_spill_count: 0
    .wavefront_size: 32
    .workgroup_processor_mode: 1
amdhsa.target:   amdgcn-amd-amdhsa--gfx1201
amdhsa.version:
  - 1
  - 2
...

	.end_amdgpu_metadata
